;; amdgpu-corpus repo=ROCm/rocFFT kind=compiled arch=gfx906 opt=O3
	.text
	.amdgcn_target "amdgcn-amd-amdhsa--gfx906"
	.amdhsa_code_object_version 6
	.protected	bluestein_single_back_len390_dim1_sp_op_CI_CI ; -- Begin function bluestein_single_back_len390_dim1_sp_op_CI_CI
	.globl	bluestein_single_back_len390_dim1_sp_op_CI_CI
	.p2align	8
	.type	bluestein_single_back_len390_dim1_sp_op_CI_CI,@function
bluestein_single_back_len390_dim1_sp_op_CI_CI: ; @bluestein_single_back_len390_dim1_sp_op_CI_CI
; %bb.0:
	v_mul_u32_u24_e32 v1, 0x691, v0
	s_load_dwordx4 s[0:3], s[4:5], 0x28
	v_lshrrev_b32_e32 v1, 16, v1
	v_mad_u64_u32 v[60:61], s[6:7], s6, 3, v[1:2]
	v_mov_b32_e32 v61, 0
	s_waitcnt lgkmcnt(0)
	v_cmp_gt_u64_e32 vcc, s[0:1], v[60:61]
	s_and_saveexec_b64 s[0:1], vcc
	s_cbranch_execz .LBB0_23
; %bb.1:
	s_mov_b32 s0, 0xaaaaaaab
	v_mul_hi_u32 v2, v60, s0
	v_mul_lo_u16_e32 v1, 39, v1
	s_load_dwordx2 s[8:9], s[4:5], 0x0
	s_load_dwordx2 s[10:11], s[4:5], 0x38
	v_sub_u16_e32 v68, v0, v1
	v_lshrrev_b32_e32 v0, 1, v2
	v_lshl_add_u32 v0, v0, 1, v0
	v_sub_u32_e32 v0, v60, v0
	v_mul_u32_u24_e32 v42, 0x186, v0
	v_cmp_gt_u16_e32 vcc, 30, v68
	v_lshlrev_b32_e32 v67, 3, v68
	v_lshlrev_b32_e32 v69, 3, v42
	s_and_saveexec_b64 s[6:7], vcc
	s_cbranch_execz .LBB0_3
; %bb.2:
	s_load_dwordx2 s[0:1], s[4:5], 0x18
	s_waitcnt lgkmcnt(0)
	s_load_dwordx4 s[12:15], s[0:1], 0x0
	s_waitcnt lgkmcnt(0)
	v_mad_u64_u32 v[0:1], s[0:1], s14, v60, 0
	v_mad_u64_u32 v[2:3], s[0:1], s12, v68, 0
	;; [unrolled: 1-line block ×4, first 2 shown]
	v_mov_b32_e32 v1, v4
	v_lshlrev_b64 v[0:1], 3, v[0:1]
	v_mov_b32_e32 v3, v5
	v_mov_b32_e32 v6, s3
	v_lshlrev_b64 v[2:3], 3, v[2:3]
	v_add_co_u32_e64 v0, s[0:1], s2, v0
	v_addc_co_u32_e64 v1, s[0:1], v6, v1, s[0:1]
	v_add_co_u32_e64 v0, s[0:1], v0, v2
	v_addc_co_u32_e64 v1, s[0:1], v1, v3, s[0:1]
	s_mul_i32 s0, s13, 0xf0
	s_mul_hi_u32 s1, s12, 0xf0
	s_add_i32 s2, s1, s0
	s_mul_i32 s3, s12, 0xf0
	v_mov_b32_e32 v3, s2
	v_add_co_u32_e64 v2, s[0:1], s3, v0
	v_addc_co_u32_e64 v3, s[0:1], v1, v3, s[0:1]
	v_mov_b32_e32 v5, s2
	v_add_co_u32_e64 v4, s[0:1], s3, v2
	v_addc_co_u32_e64 v5, s[0:1], v3, v5, s[0:1]
	;; [unrolled: 3-line block ×3, first 2 shown]
	global_load_dwordx2 v[8:9], v[0:1], off
	global_load_dwordx2 v[10:11], v[2:3], off
	;; [unrolled: 1-line block ×4, first 2 shown]
	global_load_dwordx2 v[16:17], v67, s[8:9]
	global_load_dwordx2 v[18:19], v67, s[8:9] offset:240
	global_load_dwordx2 v[20:21], v67, s[8:9] offset:480
	;; [unrolled: 1-line block ×3, first 2 shown]
	v_mov_b32_e32 v1, s2
	v_add_co_u32_e64 v0, s[0:1], s3, v6
	v_addc_co_u32_e64 v1, s[0:1], v7, v1, s[0:1]
	global_load_dwordx2 v[2:3], v[0:1], off
	v_mov_b32_e32 v4, s2
	v_add_co_u32_e64 v0, s[0:1], s3, v0
	v_addc_co_u32_e64 v1, s[0:1], v1, v4, s[0:1]
	global_load_dwordx2 v[4:5], v[0:1], off
	;; [unrolled: 4-line block ×4, first 2 shown]
	global_load_dwordx2 v[26:27], v67, s[8:9] offset:960
	global_load_dwordx2 v[28:29], v67, s[8:9] offset:1200
	;; [unrolled: 1-line block ×4, first 2 shown]
	v_mov_b32_e32 v34, s2
	v_add_co_u32_e64 v0, s[0:1], s3, v0
	v_addc_co_u32_e64 v1, s[0:1], v1, v34, s[0:1]
	global_load_dwordx2 v[34:35], v[0:1], off
	global_load_dwordx2 v[36:37], v67, s[8:9] offset:1920
	v_mov_b32_e32 v38, s2
	v_add_co_u32_e64 v0, s[0:1], s3, v0
	v_addc_co_u32_e64 v1, s[0:1], v1, v38, s[0:1]
	global_load_dwordx2 v[38:39], v[0:1], off
	v_mov_b32_e32 v40, s2
	v_add_co_u32_e64 v0, s[0:1], s3, v0
	v_addc_co_u32_e64 v1, s[0:1], v1, v40, s[0:1]
	global_load_dwordx2 v[40:41], v[0:1], off
	global_load_dwordx2 v[43:44], v67, s[8:9] offset:2160
	global_load_dwordx2 v[45:46], v67, s[8:9] offset:2400
	v_mov_b32_e32 v47, s2
	v_add_co_u32_e64 v0, s[0:1], s3, v0
	v_addc_co_u32_e64 v1, s[0:1], v1, v47, s[0:1]
	global_load_dwordx2 v[47:48], v[0:1], off
	global_load_dwordx2 v[49:50], v67, s[8:9] offset:2640
	v_mov_b32_e32 v51, s2
	v_add_co_u32_e64 v0, s[0:1], s3, v0
	v_addc_co_u32_e64 v1, s[0:1], v1, v51, s[0:1]
	global_load_dwordx2 v[51:52], v[0:1], off
	global_load_dwordx2 v[53:54], v67, s[8:9] offset:2880
	s_waitcnt vmcnt(21)
	v_mul_f32_e32 v0, v9, v17
	v_mul_f32_e32 v1, v8, v17
	v_fmac_f32_e32 v0, v8, v16
	v_fma_f32 v1, v9, v16, -v1
	v_lshl_add_u32 v8, v68, 3, v69
	ds_write_b64 v8, v[0:1]
	s_waitcnt vmcnt(20)
	v_mul_f32_e32 v0, v11, v19
	v_mul_f32_e32 v1, v10, v19
	s_waitcnt vmcnt(19)
	v_mul_f32_e32 v8, v13, v21
	v_mul_f32_e32 v9, v12, v21
	v_fmac_f32_e32 v0, v10, v18
	v_add_u32_e32 v16, v69, v67
	v_fma_f32 v1, v11, v18, -v1
	v_fmac_f32_e32 v8, v12, v20
	v_fma_f32 v9, v13, v20, -v9
	ds_write2_b64 v16, v[0:1], v[8:9] offset0:30 offset1:60
	s_waitcnt vmcnt(18)
	v_mul_f32_e32 v0, v15, v23
	v_mul_f32_e32 v1, v14, v23
	v_fmac_f32_e32 v0, v14, v22
	v_fma_f32 v1, v15, v22, -v1
	s_waitcnt vmcnt(13)
	v_mul_f32_e32 v8, v3, v27
	v_fmac_f32_e32 v8, v2, v26
	v_mul_f32_e32 v2, v2, v27
	v_fma_f32 v9, v3, v26, -v2
	ds_write2_b64 v16, v[0:1], v[8:9] offset0:90 offset1:120
	s_waitcnt vmcnt(12)
	v_mul_f32_e32 v0, v5, v29
	v_mul_f32_e32 v1, v4, v29
	s_waitcnt vmcnt(11)
	v_mul_f32_e32 v2, v7, v31
	v_mul_f32_e32 v3, v6, v31
	v_fmac_f32_e32 v0, v4, v28
	v_fma_f32 v1, v5, v28, -v1
	v_fmac_f32_e32 v2, v6, v30
	v_fma_f32 v3, v7, v30, -v3
	ds_write2_b64 v16, v[0:1], v[2:3] offset0:150 offset1:180
	s_waitcnt vmcnt(10)
	v_mul_f32_e32 v0, v25, v33
	v_mul_f32_e32 v1, v24, v33
	s_waitcnt vmcnt(8)
	v_mul_f32_e32 v2, v35, v37
	v_mul_f32_e32 v3, v34, v37
	v_fmac_f32_e32 v0, v24, v32
	v_fma_f32 v1, v25, v32, -v1
	v_fmac_f32_e32 v2, v34, v36
	;; [unrolled: 11-line block ×3, first 2 shown]
	v_fma_f32 v3, v41, v45, -v3
	v_add_u32_e32 v4, 0x800, v16
	ds_write2_b64 v4, v[0:1], v[2:3] offset0:14 offset1:44
	s_waitcnt vmcnt(2)
	v_mul_f32_e32 v0, v48, v50
	v_mul_f32_e32 v1, v47, v50
	s_waitcnt vmcnt(0)
	v_mul_f32_e32 v2, v52, v54
	v_mul_f32_e32 v3, v51, v54
	v_fmac_f32_e32 v0, v47, v49
	v_fma_f32 v1, v48, v49, -v1
	v_fmac_f32_e32 v2, v51, v53
	v_fma_f32 v3, v52, v53, -v3
	ds_write2_b64 v4, v[0:1], v[2:3] offset0:74 offset1:104
.LBB0_3:
	s_or_b64 exec, exec, s[6:7]
	v_mov_b32_e32 v4, 0
	v_mov_b32_e32 v5, 0
	s_waitcnt lgkmcnt(0)
	s_barrier
	s_waitcnt lgkmcnt(0)
                                        ; implicit-def: $vgpr10
                                        ; implicit-def: $vgpr16
                                        ; implicit-def: $vgpr24
                                        ; implicit-def: $vgpr0
                                        ; implicit-def: $vgpr22
                                        ; implicit-def: $vgpr14
	s_and_saveexec_b64 s[0:1], vcc
	s_cbranch_execz .LBB0_5
; %bb.4:
	v_lshl_add_u32 v0, v42, 3, v67
	ds_read2_b64 v[4:7], v0 offset1:30
	ds_read2_b64 v[12:15], v0 offset0:60 offset1:90
	ds_read2_b64 v[20:23], v0 offset0:120 offset1:150
	;; [unrolled: 1-line block ×3, first 2 shown]
	v_add_u32_e32 v1, 0x400, v0
	ds_read2_b64 v[16:19], v1 offset0:112 offset1:142
	v_add_u32_e32 v1, 0x800, v0
	ds_read2_b64 v[24:27], v1 offset0:44 offset1:74
	ds_read_b64 v[0:1], v0 offset:2880
.LBB0_5:
	s_or_b64 exec, exec, s[0:1]
	s_waitcnt lgkmcnt(0)
	v_sub_f32_e32 v59, v7, v1
	v_mul_f32_e32 v34, 0xbeedf032, v59
	v_sub_f32_e32 v71, v13, v27
	v_add_f32_e32 v28, v0, v6
	v_sub_f32_e32 v64, v6, v0
	v_mov_b32_e32 v2, v34
	v_mul_f32_e32 v45, 0xbf52af12, v71
	v_add_f32_e32 v29, v1, v7
	s_mov_b32 s12, 0x3f62ad3f
	v_mul_f32_e32 v43, 0xbeedf032, v64
	v_fmac_f32_e32 v2, 0x3f62ad3f, v28
	v_add_f32_e32 v30, v26, v12
	v_sub_f32_e32 v77, v12, v26
	v_mov_b32_e32 v32, v45
	v_add_f32_e32 v2, v2, v4
	v_fma_f32 v3, v29, s12, -v43
	s_mov_b32 s13, 0x3f116cb1
	v_add_f32_e32 v31, v27, v13
	v_mul_f32_e32 v47, 0xbf52af12, v77
	v_fmac_f32_e32 v32, 0x3f116cb1, v30
	v_sub_f32_e32 v80, v15, v25
	v_add_f32_e32 v3, v3, v5
	v_add_f32_e32 v2, v32, v2
	v_fma_f32 v32, v31, s13, -v47
	v_mul_f32_e32 v49, 0xbf7e222b, v80
	v_add_f32_e32 v3, v32, v3
	v_add_f32_e32 v32, v24, v14
	v_sub_f32_e32 v81, v14, v24
	v_mov_b32_e32 v35, v49
	s_mov_b32 s14, 0x3df6dbef
	v_add_f32_e32 v33, v25, v15
	v_mul_f32_e32 v51, 0xbf7e222b, v81
	v_fmac_f32_e32 v35, 0x3df6dbef, v32
	v_sub_f32_e32 v82, v21, v19
	v_add_f32_e32 v2, v35, v2
	v_fma_f32 v35, v33, s14, -v51
	v_mul_f32_e32 v53, 0xbf6f5d39, v82
	v_add_f32_e32 v3, v35, v3
	v_add_f32_e32 v35, v18, v20
	v_sub_f32_e32 v83, v20, v18
	v_mov_b32_e32 v36, v53
	s_mov_b32 s15, 0xbeb58ec6
	v_add_f32_e32 v44, v19, v21
	v_mul_f32_e32 v54, 0xbf6f5d39, v83
	v_fmac_f32_e32 v36, 0xbeb58ec6, v35
	v_sub_f32_e32 v84, v23, v17
	;; [unrolled: 12-line block ×3, first 2 shown]
	v_add_f32_e32 v2, v36, v2
	v_fma_f32 v36, v48, s17, -v56
	v_mul_f32_e32 v57, 0xbe750f2a, v92
	v_add_f32_e32 v3, v36, v3
	v_add_f32_e32 v50, v10, v8
	v_mov_b32_e32 v36, v57
	v_sub_f32_e32 v93, v8, v10
	s_mov_b32 s16, 0xbf788fa5
	v_fmac_f32_e32 v36, 0xbf788fa5, v50
	v_add_f32_e32 v52, v11, v9
	v_mul_f32_e32 v58, 0xbe750f2a, v93
	v_mul_f32_e32 v61, 0xbf52af12, v59
	v_fma_f32 v37, v52, s16, -v58
	v_add_f32_e32 v2, v36, v2
	v_mov_b32_e32 v36, v61
	v_mul_f32_e32 v62, 0xbf6f5d39, v71
	v_add_f32_e32 v3, v37, v3
	v_fmac_f32_e32 v36, 0x3f116cb1, v28
	v_mov_b32_e32 v37, v62
	v_add_f32_e32 v36, v36, v4
	v_fmac_f32_e32 v37, 0xbeb58ec6, v30
	v_mul_f32_e32 v75, 0xbf52af12, v64
	v_add_f32_e32 v36, v37, v36
	v_fma_f32 v37, v29, s13, -v75
	v_mul_f32_e32 v73, 0xbf6f5d39, v77
	v_add_f32_e32 v37, v37, v5
	v_fma_f32 v38, v31, s15, -v73
	v_mul_f32_e32 v63, 0xbe750f2a, v80
	v_add_f32_e32 v37, v38, v37
	v_mov_b32_e32 v38, v63
	v_fmac_f32_e32 v38, 0xbf788fa5, v32
	v_mul_f32_e32 v74, 0xbe750f2a, v81
	v_add_f32_e32 v36, v38, v36
	v_fma_f32 v38, v33, s16, -v74
	v_mul_f32_e32 v65, 0x3f29c268, v82
	v_add_f32_e32 v37, v38, v37
	v_mov_b32_e32 v38, v65
	v_fmac_f32_e32 v38, 0xbf3f9e67, v35
	;; [unrolled: 7-line block ×4, first 2 shown]
	v_mul_f32_e32 v79, 0x3eedf032, v93
	v_add_f32_e32 v38, v38, v36
	v_fma_f32 v36, v52, s12, -v79
	v_mul_f32_e32 v85, 0xbf7e222b, v59
	v_add_f32_e32 v39, v36, v37
	v_mov_b32_e32 v36, v85
	v_mul_f32_e32 v86, 0xbe750f2a, v71
	v_fmac_f32_e32 v36, 0x3df6dbef, v28
	v_mov_b32_e32 v37, v86
	v_add_f32_e32 v36, v36, v4
	v_fmac_f32_e32 v37, 0xbf788fa5, v30
	v_mul_f32_e32 v94, 0xbf7e222b, v64
	v_add_f32_e32 v36, v37, v36
	v_fma_f32 v37, v29, s14, -v94
	v_mul_f32_e32 v95, 0xbe750f2a, v77
	v_add_f32_e32 v37, v37, v5
	v_fma_f32 v40, v31, s16, -v95
	v_mul_f32_e32 v87, 0x3f6f5d39, v80
	v_add_f32_e32 v37, v40, v37
	v_mov_b32_e32 v40, v87
	v_fmac_f32_e32 v40, 0xbeb58ec6, v32
	v_mul_f32_e32 v96, 0x3f6f5d39, v81
	v_add_f32_e32 v36, v40, v36
	v_fma_f32 v40, v33, s15, -v96
	v_mul_f32_e32 v88, 0x3eedf032, v82
	v_add_f32_e32 v37, v40, v37
	v_mov_b32_e32 v40, v88
	v_fmac_f32_e32 v40, 0x3f62ad3f, v35
	;; [unrolled: 7-line block ×4, first 2 shown]
	v_mul_f32_e32 v99, 0xbf29c268, v93
	v_add_f32_e32 v40, v40, v36
	v_fma_f32 v36, v52, s17, -v99
	v_mul_f32_e32 v100, 0xbf6f5d39, v59
	v_add_f32_e32 v41, v36, v37
	v_mov_b32_e32 v36, v100
	v_mul_f32_e32 v101, 0x3f29c268, v71
	v_fmac_f32_e32 v36, 0xbeb58ec6, v28
	v_mov_b32_e32 v37, v101
	v_add_f32_e32 v36, v36, v4
	v_fmac_f32_e32 v37, 0xbf3f9e67, v30
	v_mul_f32_e32 v106, 0xbf6f5d39, v64
	v_add_f32_e32 v36, v37, v36
	v_fma_f32 v37, v29, s15, -v106
	v_mul_f32_e32 v107, 0x3f29c268, v77
	v_add_f32_e32 v37, v37, v5
	v_fma_f32 v70, v31, s17, -v107
	v_mul_f32_e32 v102, 0x3eedf032, v80
	v_add_f32_e32 v37, v70, v37
	v_mov_b32_e32 v70, v102
	v_fmac_f32_e32 v70, 0x3f62ad3f, v32
	v_mul_f32_e32 v108, 0x3eedf032, v81
	v_add_f32_e32 v36, v70, v36
	v_fma_f32 v70, v33, s12, -v108
	v_mul_f32_e32 v103, 0xbf7e222b, v82
	v_add_f32_e32 v37, v70, v37
	v_mov_b32_e32 v70, v103
	v_fmac_f32_e32 v70, 0x3df6dbef, v35
	;; [unrolled: 7-line block ×3, first 2 shown]
	v_mul_f32_e32 v110, 0x3e750f2a, v91
	v_add_f32_e32 v36, v70, v36
	v_fma_f32 v70, v48, s16, -v110
	v_mul_f32_e32 v105, 0x3f52af12, v92
	s_load_dwordx2 s[6:7], s[4:5], 0x20
	s_load_dwordx2 s[2:3], s[4:5], 0x8
	v_add_f32_e32 v37, v70, v37
	v_mov_b32_e32 v70, v105
	v_fmac_f32_e32 v70, 0x3f116cb1, v50
	v_mul_f32_e32 v111, 0x3f52af12, v93
	v_add_f32_e32 v36, v70, v36
	v_fma_f32 v70, v52, s13, -v111
	v_add_f32_e32 v37, v70, v37
	v_mul_lo_u16_e32 v70, 13, v68
	s_waitcnt lgkmcnt(0)
	s_barrier
	s_and_saveexec_b64 s[0:1], vcc
	s_cbranch_execz .LBB0_7
; %bb.6:
	v_mul_f32_e32 v114, 0xbe750f2a, v64
	v_mov_b32_e32 v112, v114
	v_mul_f32_e32 v115, 0x3eedf032, v77
	v_fmac_f32_e32 v112, 0xbf788fa5, v29
	v_mov_b32_e32 v113, v115
	v_add_f32_e32 v112, v112, v5
	v_fmac_f32_e32 v113, 0x3f62ad3f, v31
	v_mul_f32_e32 v116, 0xbf29c268, v81
	v_add_f32_e32 v112, v113, v112
	v_mov_b32_e32 v113, v116
	v_fmac_f32_e32 v113, 0xbf3f9e67, v33
	v_mul_f32_e32 v117, 0x3f52af12, v83
	v_add_f32_e32 v112, v113, v112
	v_mov_b32_e32 v113, v117
	v_fmac_f32_e32 v113, 0x3f116cb1, v44
	v_mul_f32_e32 v118, 0xbf6f5d39, v91
	v_add_f32_e32 v112, v113, v112
	v_mov_b32_e32 v113, v118
	v_fmac_f32_e32 v113, 0xbeb58ec6, v48
	v_mul_f32_e32 v119, 0xbe750f2a, v59
	v_add_f32_e32 v112, v113, v112
	v_fma_f32 v113, v28, s16, -v119
	v_mul_f32_e32 v120, 0x3eedf032, v71
	v_add_f32_e32 v113, v113, v4
	v_fma_f32 v121, v30, s12, -v120
	v_add_f32_e32 v113, v121, v113
	v_mul_f32_e32 v121, 0xbf29c268, v80
	v_fma_f32 v122, v32, s17, -v121
	v_add_f32_e32 v113, v122, v113
	v_mul_f32_e32 v122, 0x3f52af12, v82
	;; [unrolled: 3-line block ×3, first 2 shown]
	v_fma_f32 v124, v46, s15, -v123
	v_mul_f32_e32 v125, 0x3f7e222b, v93
	v_add_f32_e32 v124, v124, v113
	v_mov_b32_e32 v113, v125
	v_fmac_f32_e32 v113, 0x3df6dbef, v52
	v_mul_f32_e32 v126, 0x3f7e222b, v92
	v_add_f32_e32 v113, v113, v112
	v_fma_f32 v112, v50, s14, -v126
	v_mul_f32_e32 v64, 0xbf29c268, v64
	v_add_f32_e32 v112, v112, v124
	v_mov_b32_e32 v124, v64
	v_mul_f32_e32 v77, 0x3f7e222b, v77
	v_fmac_f32_e32 v124, 0xbf3f9e67, v29
	v_mov_b32_e32 v127, v77
	v_add_f32_e32 v124, v124, v5
	v_fmac_f32_e32 v127, 0x3df6dbef, v31
	v_add_f32_e32 v124, v127, v124
	v_mul_f32_e32 v127, 0xbf52af12, v81
	v_mov_b32_e32 v81, v127
	v_fmac_f32_e32 v81, 0x3f116cb1, v33
	v_add_f32_e32 v81, v81, v124
	v_mul_f32_e32 v124, 0x3e750f2a, v83
	v_mov_b32_e32 v83, v124
	v_fmac_f32_e32 v83, 0xbf788fa5, v44
	v_mul_f32_e32 v91, 0x3eedf032, v91
	v_add_f32_e32 v81, v83, v81
	v_mov_b32_e32 v83, v91
	v_fmac_f32_e32 v83, 0x3f62ad3f, v48
	v_mul_f32_e32 v59, 0xbf29c268, v59
	v_add_f32_e32 v81, v83, v81
	v_fma_f32 v83, v28, s17, -v59
	v_mul_f32_e32 v71, 0x3f7e222b, v71
	v_add_f32_e32 v83, v83, v4
	v_fma_f32 v128, v30, s14, -v71
	v_add_f32_e32 v83, v128, v83
	v_mul_f32_e32 v128, 0xbf52af12, v80
	v_fma_f32 v80, v32, s13, -v128
	v_mul_f32_e32 v129, 0x3e750f2a, v82
	v_add_f32_e32 v80, v80, v83
	v_fma_f32 v82, v35, s16, -v129
	v_mul_f32_e32 v130, 0x3eedf032, v84
	v_add_f32_e32 v80, v82, v80
	;; [unrolled: 3-line block ×3, first 2 shown]
	v_mov_b32_e32 v82, v93
	v_fmac_f32_e32 v82, 0xbeb58ec6, v52
	v_mul_f32_e32 v92, 0xbf6f5d39, v92
	v_add_f32_e32 v81, v82, v81
	v_fma_f32 v82, v50, s15, -v92
	v_add_f32_e32 v80, v82, v80
	v_mul_f32_e32 v82, 0xbeb58ec6, v29
	v_mul_f32_e32 v84, 0xbeb58ec6, v28
	v_add_f32_e32 v82, v106, v82
	v_mul_f32_e32 v83, 0xbf3f9e67, v31
	v_sub_f32_e32 v84, v84, v100
	v_mul_f32_e32 v100, 0xbf3f9e67, v30
	v_add_f32_e32 v83, v107, v83
	v_add_f32_e32 v82, v82, v5
	v_sub_f32_e32 v100, v100, v101
	v_add_f32_e32 v84, v84, v4
	v_add_f32_e32 v82, v83, v82
	v_mul_f32_e32 v83, 0x3f62ad3f, v33
	v_add_f32_e32 v84, v100, v84
	v_mul_f32_e32 v100, 0x3f62ad3f, v32
	v_add_f32_e32 v83, v108, v83
	v_sub_f32_e32 v100, v100, v102
	v_add_f32_e32 v82, v83, v82
	v_mul_f32_e32 v83, 0x3df6dbef, v44
	v_add_f32_e32 v84, v100, v84
	v_mul_f32_e32 v100, 0x3df6dbef, v35
	v_add_f32_e32 v83, v109, v83
	v_sub_f32_e32 v100, v100, v103
	;; [unrolled: 6-line block ×4, first 2 shown]
	v_add_f32_e32 v83, v83, v82
	v_add_f32_e32 v82, v100, v84
	v_mul_f32_e32 v84, 0x3df6dbef, v29
	v_add_f32_e32 v84, v94, v84
	v_mul_f32_e32 v94, 0xbf788fa5, v31
	v_add_f32_e32 v94, v95, v94
	v_add_f32_e32 v84, v84, v5
	;; [unrolled: 1-line block ×3, first 2 shown]
	v_mul_f32_e32 v94, 0xbeb58ec6, v33
	v_add_f32_e32 v94, v96, v94
	v_add_f32_e32 v84, v94, v84
	v_mul_f32_e32 v94, 0x3f62ad3f, v44
	v_add_f32_e32 v94, v97, v94
	v_add_f32_e32 v84, v94, v84
	;; [unrolled: 3-line block ×3, first 2 shown]
	v_mul_f32_e32 v94, 0xbf3f9e67, v52
	v_add_f32_e32 v94, v99, v94
	v_mul_f32_e32 v99, 0x3df6dbef, v28
	v_sub_f32_e32 v85, v99, v85
	v_mul_f32_e32 v99, 0xbf788fa5, v30
	v_sub_f32_e32 v86, v99, v86
	v_add_f32_e32 v85, v85, v4
	v_add_f32_e32 v6, v6, v4
	v_add_f32_e32 v85, v86, v85
	v_mul_f32_e32 v86, 0xbeb58ec6, v32
	v_add_f32_e32 v7, v7, v5
	v_add_f32_e32 v6, v12, v6
	v_sub_f32_e32 v86, v86, v87
	v_add_f32_e32 v7, v13, v7
	v_add_f32_e32 v6, v14, v6
	v_add_f32_e32 v85, v86, v85
	v_mul_f32_e32 v86, 0x3f62ad3f, v35
	v_add_f32_e32 v7, v15, v7
	v_add_f32_e32 v6, v20, v6
	;; [unrolled: 7-line block ×3, first 2 shown]
	v_mul_f32_e32 v98, 0x3f116cb1, v29
	v_sub_f32_e32 v86, v86, v89
	v_add_f32_e32 v7, v9, v7
	v_add_f32_e32 v6, v10, v6
	v_mul_f32_e32 v89, 0xbeb58ec6, v31
	v_add_f32_e32 v86, v86, v85
	v_mul_f32_e32 v85, 0xbf3f9e67, v50
	v_add_f32_e32 v75, v75, v98
	v_add_f32_e32 v7, v11, v7
	;; [unrolled: 1-line block ×3, first 2 shown]
	v_sub_f32_e32 v90, v85, v90
	v_add_f32_e32 v85, v94, v84
	v_mul_f32_e32 v94, 0xbf788fa5, v33
	v_add_f32_e32 v73, v73, v89
	v_add_f32_e32 v75, v75, v5
	;; [unrolled: 1-line block ×4, first 2 shown]
	v_mul_f32_e32 v96, 0x3f62ad3f, v29
	v_add_f32_e32 v73, v73, v75
	v_add_f32_e32 v74, v74, v94
	;; [unrolled: 1-line block ×4, first 2 shown]
	v_mul_f32_e32 v87, 0x3f116cb1, v31
	v_add_f32_e32 v73, v74, v73
	v_mul_f32_e32 v74, 0xbf3f9e67, v44
	v_add_f32_e32 v43, v43, v96
	v_add_f32_e32 v7, v25, v7
	v_add_f32_e32 v6, v26, v6
	v_add_f32_e32 v84, v90, v86
	v_mul_f32_e32 v86, 0x3df6dbef, v33
	v_add_f32_e32 v74, v76, v74
	v_add_f32_e32 v43, v43, v5
	v_add_f32_e32 v47, v47, v87
	v_add_f32_e32 v7, v27, v7
	v_add_f32_e32 v0, v0, v6
	v_fma_f32 v6, v29, s16, -v114
	v_mul_f32_e32 v75, 0xbeb58ec6, v44
	v_add_f32_e32 v73, v74, v73
	v_mul_f32_e32 v74, 0x3df6dbef, v48
	v_add_f32_e32 v43, v47, v43
	v_add_f32_e32 v47, v51, v86
	;; [unrolled: 1-line block ×4, first 2 shown]
	v_fma_f32 v7, v31, s12, -v115
	v_mul_f32_e32 v88, 0xbeb58ec6, v30
	v_add_f32_e32 v74, v78, v74
	v_mul_f32_e32 v78, 0xbf3f9e67, v48
	v_add_f32_e32 v43, v47, v43
	v_add_f32_e32 v47, v54, v75
	v_add_f32_e32 v6, v7, v6
	v_fma_f32 v7, v33, s17, -v116
	v_mul_f32_e32 v95, 0x3f62ad3f, v28
	v_sub_f32_e32 v62, v88, v62
	v_mul_f32_e32 v88, 0xbf788fa5, v52
	v_add_f32_e32 v43, v47, v43
	v_add_f32_e32 v47, v56, v78
	;; [unrolled: 1-line block ×3, first 2 shown]
	v_fma_f32 v7, v44, s13, -v117
	v_mul_f32_e32 v97, 0x3f116cb1, v28
	v_mul_f32_e32 v99, 0x3f116cb1, v30
	v_add_f32_e32 v43, v47, v43
	v_add_f32_e32 v47, v58, v88
	v_sub_f32_e32 v34, v95, v34
	v_add_f32_e32 v6, v7, v6
	v_fma_f32 v7, v48, s15, -v118
	v_fma_f32 v8, v29, s17, -v64
	v_mul_f32_e32 v100, 0x3df6dbef, v32
	v_sub_f32_e32 v61, v97, v61
	v_add_f32_e32 v54, v47, v43
	v_add_f32_e32 v34, v34, v4
	v_sub_f32_e32 v43, v99, v45
	v_add_f32_e32 v6, v7, v6
	v_fma_f32 v7, v52, s14, -v125
	v_fmac_f32_e32 v119, 0xbf788fa5, v28
	v_add_f32_e32 v5, v8, v5
	v_fma_f32 v8, v31, s14, -v77
	v_fmac_f32_e32 v59, 0xbf3f9e67, v28
	v_mul_f32_e32 v90, 0xbf788fa5, v32
	v_mul_f32_e32 v89, 0xbeb58ec6, v35
	v_add_f32_e32 v61, v61, v4
	v_add_f32_e32 v34, v43, v34
	v_sub_f32_e32 v43, v100, v49
	v_add_f32_e32 v7, v7, v6
	v_add_f32_e32 v6, v119, v4
	v_fmac_f32_e32 v120, 0x3f62ad3f, v30
	v_add_f32_e32 v5, v8, v5
	v_fma_f32 v8, v33, s13, -v127
	v_add_f32_e32 v4, v59, v4
	v_fmac_f32_e32 v71, 0x3df6dbef, v30
	v_mul_f32_e32 v94, 0xbf3f9e67, v35
	v_mul_f32_e32 v76, 0xbf3f9e67, v46
	v_add_f32_e32 v73, v74, v73
	v_mul_f32_e32 v74, 0x3f62ad3f, v52
	v_add_f32_e32 v61, v62, v61
	v_sub_f32_e32 v63, v90, v63
	v_add_f32_e32 v34, v43, v34
	v_sub_f32_e32 v43, v89, v53
	v_add_f32_e32 v6, v120, v6
	v_fmac_f32_e32 v121, 0xbf3f9e67, v32
	v_add_f32_e32 v5, v8, v5
	v_fma_f32 v8, v44, s16, -v124
	v_add_f32_e32 v4, v71, v4
	v_fmac_f32_e32 v128, 0x3f116cb1, v32
	v_add_f32_e32 v74, v79, v74
	v_mul_f32_e32 v79, 0x3df6dbef, v46
	v_mul_f32_e32 v97, 0xbf788fa5, v50
	v_add_f32_e32 v61, v63, v61
	v_sub_f32_e32 v63, v94, v65
	v_add_f32_e32 v34, v43, v34
	v_sub_f32_e32 v43, v76, v55
	v_add_f32_e32 v6, v121, v6
	v_fmac_f32_e32 v122, 0x3f116cb1, v35
	v_add_f32_e32 v5, v8, v5
	v_fma_f32 v8, v48, s12, -v91
	v_add_f32_e32 v4, v128, v4
	v_fmac_f32_e32 v129, 0xbf788fa5, v35
	v_mul_f32_e32 v98, 0x3f62ad3f, v50
	v_add_f32_e32 v61, v63, v61
	v_sub_f32_e32 v63, v79, v66
	v_add_f32_e32 v34, v43, v34
	v_sub_f32_e32 v43, v97, v57
	v_add_f32_e32 v6, v122, v6
	v_fmac_f32_e32 v123, 0xbeb58ec6, v46
	v_add_f32_e32 v5, v8, v5
	v_fma_f32 v8, v52, s15, -v93
	v_add_f32_e32 v4, v129, v4
	v_fmac_f32_e32 v130, 0x3f62ad3f, v46
	v_add_f32_e32 v61, v63, v61
	v_sub_f32_e32 v63, v98, v72
	v_add_f32_e32 v53, v43, v34
	v_add_f32_e32 v6, v123, v6
	v_fmac_f32_e32 v126, 0x3df6dbef, v50
	v_add_f32_e32 v5, v8, v5
	v_add_f32_e32 v4, v130, v4
	v_fmac_f32_e32 v92, 0xbeb58ec6, v50
	v_add_lshl_u32 v8, v42, v70, 3
	v_add_f32_e32 v62, v74, v73
	v_add_f32_e32 v61, v63, v61
	;; [unrolled: 1-line block ×4, first 2 shown]
	ds_write2_b64 v8, v[0:1], v[53:54] offset1:1
	ds_write2_b64 v8, v[61:62], v[84:85] offset0:2 offset1:3
	ds_write2_b64 v8, v[82:83], v[80:81] offset0:4 offset1:5
	;; [unrolled: 1-line block ×5, first 2 shown]
	ds_write_b64 v8, v[2:3] offset:96
.LBB0_7:
	s_or_b64 exec, exec, s[0:1]
	v_add_lshl_u32 v72, v42, v68, 3
	v_add_u32_e32 v0, 0x800, v72
	s_waitcnt lgkmcnt(0)
	s_barrier
	ds_read2_b64 v[24:27], v72 offset1:39
	ds_read2_b64 v[20:23], v72 offset0:78 offset1:130
	ds_read2_b64 v[28:31], v0 offset0:4 offset1:43
	;; [unrolled: 1-line block ×3, first 2 shown]
	ds_read_b64 v[0:1], v72 offset:2704
	v_cmp_gt_u16_e64 s[0:1], 13, v68
	s_and_saveexec_b64 s[4:5], s[0:1]
	s_cbranch_execz .LBB0_9
; %bb.8:
	ds_read2_b64 v[4:7], v72 offset0:117 offset1:247
	ds_read_b64 v[38:39], v72 offset:3016
	s_waitcnt lgkmcnt(1)
	v_mov_b32_e32 v36, v4
	v_mov_b32_e32 v37, v5
	;; [unrolled: 1-line block ×4, first 2 shown]
.LBB0_9:
	s_or_b64 exec, exec, s[4:5]
	s_movk_i32 s4, 0x4f
	v_mul_lo_u16_sdwa v4, v68, s4 dst_sel:DWORD dst_unused:UNUSED_PAD src0_sel:BYTE_0 src1_sel:DWORD
	v_add_u16_e32 v6, 39, v68
	v_lshrrev_b16_e32 v47, 10, v4
	v_mul_lo_u16_sdwa v7, v6, s4 dst_sel:DWORD dst_unused:UNUSED_PAD src0_sel:BYTE_0 src1_sel:DWORD
	v_mul_lo_u16_e32 v4, 13, v47
	v_lshrrev_b16_e32 v49, 10, v7
	v_sub_u16_e32 v48, v68, v4
	v_mov_b32_e32 v4, 4
	v_mul_lo_u16_e32 v7, 13, v49
	v_lshlrev_b32_sdwa v5, v4, v48 dst_sel:DWORD dst_unused:UNUSED_PAD src0_sel:DWORD src1_sel:BYTE_0
	v_sub_u16_e32 v50, v6, v7
	v_lshlrev_b32_sdwa v6, v4, v50 dst_sel:DWORD dst_unused:UNUSED_PAD src0_sel:DWORD src1_sel:BYTE_0
	global_load_dwordx4 v[12:15], v5, s[2:3]
	global_load_dwordx4 v[8:11], v6, s[2:3]
	v_add_u16_e32 v5, 0x4e, v68
	v_mul_lo_u16_sdwa v6, v5, s4 dst_sel:DWORD dst_unused:UNUSED_PAD src0_sel:BYTE_0 src1_sel:DWORD
	v_lshrrev_b16_e32 v51, 10, v6
	v_mul_lo_u16_e32 v6, 13, v51
	v_sub_u16_e32 v52, v5, v6
	v_lshlrev_b32_sdwa v4, v4, v52 dst_sel:DWORD dst_unused:UNUSED_PAD src0_sel:DWORD src1_sel:BYTE_0
	global_load_dwordx4 v[16:19], v4, s[2:3]
	v_add_u16_e32 v4, 0x75, v68
	v_mul_lo_u16_sdwa v5, v4, s4 dst_sel:DWORD dst_unused:UNUSED_PAD src0_sel:BYTE_0 src1_sel:DWORD
	v_lshrrev_b16_e32 v5, 10, v5
	v_mul_lo_u16_e32 v5, 13, v5
	v_sub_u16_e32 v73, v4, v5
	v_lshlrev_b16_e32 v4, 1, v73
	v_and_b32_e32 v4, 0xfe, v4
	v_lshlrev_b32_e32 v4, 3, v4
	global_load_dwordx4 v[4:7], v4, s[2:3]
	v_mul_u32_u24_e32 v47, 39, v47
	v_add_u32_sdwa v47, v47, v48 dst_sel:DWORD dst_unused:UNUSED_PAD src0_sel:DWORD src1_sel:BYTE_0
	v_add_lshl_u32 v74, v42, v47, 3
	s_load_dwordx4 s[4:7], s[6:7], 0x0
	s_waitcnt vmcnt(0) lgkmcnt(0)
	s_barrier
	v_mul_f32_e32 v44, v22, v13
	v_mul_f32_e32 v46, v28, v15
	;; [unrolled: 1-line block ×5, first 2 shown]
	v_fmac_f32_e32 v44, v23, v12
	v_fmac_f32_e32 v46, v29, v14
	;; [unrolled: 1-line block ×3, first 2 shown]
	v_mul_f32_e32 v59, v1, v19
	v_fmac_f32_e32 v56, v31, v10
	v_mul_f32_e32 v43, v23, v13
	v_mul_f32_e32 v55, v31, v11
	;; [unrolled: 1-line block ×3, first 2 shown]
	v_fma_f32 v53, v32, v8, -v53
	v_fma_f32 v0, v0, v18, -v59
	v_sub_f32_e32 v59, v44, v46
	v_add_f32_e32 v32, v25, v44
	v_add_f32_e32 v33, v44, v46
	v_sub_f32_e32 v44, v54, v56
	v_add_f32_e32 v62, v27, v54
	v_add_f32_e32 v54, v54, v56
	v_mul_f32_e32 v45, v29, v15
	v_mul_f32_e32 v57, v35, v17
	;; [unrolled: 1-line block ×3, first 2 shown]
	v_fma_f32 v43, v22, v12, -v43
	v_fma_f32 v55, v30, v10, -v55
	v_fmac_f32_e32 v61, v1, v18
	v_mul_f32_e32 v1, v41, v5
	v_mul_f32_e32 v22, v40, v5
	v_fmac_f32_e32 v27, -0.5, v54
	v_fma_f32 v45, v28, v14, -v45
	v_fma_f32 v57, v34, v16, -v57
	v_fmac_f32_e32 v58, v35, v16
	v_add_f32_e32 v35, v53, v55
	v_fma_f32 v28, v40, v4, -v1
	v_fmac_f32_e32 v22, v41, v4
	v_fma_f32 v25, -0.5, v33, v25
	v_sub_f32_e32 v1, v53, v55
	v_mov_b32_e32 v41, v27
	v_add_f32_e32 v30, v24, v43
	v_add_f32_e32 v31, v43, v45
	v_sub_f32_e32 v43, v43, v45
	v_add_f32_e32 v34, v26, v53
	v_fma_f32 v26, -0.5, v35, v26
	v_mov_b32_e32 v35, v25
	v_fmac_f32_e32 v41, 0xbf5db3d7, v1
	v_fmac_f32_e32 v27, 0x3f5db3d7, v1
	v_add_f32_e32 v1, v20, v57
	v_fmac_f32_e32 v25, 0x3f5db3d7, v43
	v_fmac_f32_e32 v35, 0xbf5db3d7, v43
	v_add_f32_e32 v43, v1, v0
	v_add_f32_e32 v1, v57, v0
	v_fma_f32 v20, -0.5, v1, v20
	v_add_f32_e32 v30, v30, v45
	v_sub_f32_e32 v1, v58, v61
	v_mov_b32_e32 v45, v20
	v_mov_b32_e32 v40, v26
	v_fmac_f32_e32 v45, 0x3f5db3d7, v1
	v_fmac_f32_e32 v20, 0xbf5db3d7, v1
	v_add_f32_e32 v1, v21, v58
	v_fmac_f32_e32 v26, 0xbf5db3d7, v44
	v_fmac_f32_e32 v40, 0x3f5db3d7, v44
	v_add_f32_e32 v44, v1, v61
	v_add_f32_e32 v1, v58, v61
	v_mul_f32_e32 v29, v39, v7
	v_fmac_f32_e32 v21, -0.5, v1
	v_fma_f32 v29, v38, v6, -v29
	v_fma_f32 v24, -0.5, v31, v24
	v_add_f32_e32 v31, v32, v46
	v_sub_f32_e32 v0, v57, v0
	v_mov_b32_e32 v46, v21
	v_mul_f32_e32 v23, v38, v7
	v_add_f32_e32 v32, v34, v55
	v_mov_b32_e32 v34, v24
	v_fmac_f32_e32 v46, 0xbf5db3d7, v0
	v_fmac_f32_e32 v21, 0x3f5db3d7, v0
	v_add_f32_e32 v0, v28, v29
	v_fmac_f32_e32 v23, v39, v6
	v_fmac_f32_e32 v24, 0xbf5db3d7, v59
	;; [unrolled: 1-line block ×3, first 2 shown]
	v_fma_f32 v0, -0.5, v0, v36
	v_sub_f32_e32 v1, v22, v23
	v_mov_b32_e32 v38, v0
	ds_write2_b64 v74, v[30:31], v[34:35] offset1:13
	ds_write_b64 v74, v[24:25] offset:208
	v_mul_u32_u24_e32 v24, 39, v49
	v_fmac_f32_e32 v38, 0x3f5db3d7, v1
	v_fmac_f32_e32 v0, 0xbf5db3d7, v1
	v_add_f32_e32 v1, v22, v23
	v_add_u32_sdwa v24, v24, v50 dst_sel:DWORD dst_unused:UNUSED_PAD src0_sel:DWORD src1_sel:BYTE_0
	v_fma_f32 v1, -0.5, v1, v37
	v_add_lshl_u32 v75, v42, v24, 3
	v_mul_u32_u24_e32 v24, 39, v51
	v_sub_f32_e32 v53, v28, v29
	v_mov_b32_e32 v39, v1
	v_add_u32_sdwa v24, v24, v52 dst_sel:DWORD dst_unused:UNUSED_PAD src0_sel:DWORD src1_sel:BYTE_0
	v_add_f32_e32 v33, v62, v56
	v_fmac_f32_e32 v39, 0xbf5db3d7, v53
	v_fmac_f32_e32 v1, 0x3f5db3d7, v53
	v_add_lshl_u32 v76, v42, v24, 3
	ds_write2_b64 v75, v[32:33], v[40:41] offset1:13
	ds_write_b64 v75, v[26:27] offset:208
	ds_write2_b64 v76, v[43:44], v[45:46] offset1:13
	ds_write_b64 v76, v[20:21] offset:208
	s_and_saveexec_b64 s[12:13], s[0:1]
	s_cbranch_execz .LBB0_11
; %bb.10:
	v_add_f32_e32 v20, v37, v22
	v_and_b32_e32 v22, 0xff, v73
	v_add_f32_e32 v21, v20, v23
	v_add_f32_e32 v20, v36, v28
	v_add_lshl_u32 v22, v42, v22, 3
	v_add_f32_e32 v20, v20, v29
	v_add_u32_e32 v23, 0x800, v22
	ds_write2_b64 v23, v[20:21], v[38:39] offset0:95 offset1:108
	ds_write_b64 v22, v[0:1] offset:3016
.LBB0_11:
	s_or_b64 exec, exec, s[12:13]
	v_mov_b32_e32 v21, s3
	s_movk_i32 s12, 0x48
	v_mov_b32_e32 v20, s2
	v_mad_u64_u32 v[36:37], s[2:3], v68, s12, v[20:21]
	s_waitcnt lgkmcnt(0)
	s_barrier
	global_load_dwordx4 v[32:35], v[36:37], off offset:208
	global_load_dwordx4 v[28:31], v[36:37], off offset:224
	;; [unrolled: 1-line block ×4, first 2 shown]
	global_load_dwordx2 v[61:62], v[36:37], off offset:272
	v_add_u32_e32 v52, 0x800, v72
	ds_read2_b64 v[40:43], v72 offset1:39
	ds_read2_b64 v[44:47], v72 offset0:117 offset1:156
	ds_read2_b64 v[48:51], v72 offset0:195 offset1:234
	ds_read_b64 v[36:37], v72 offset:624
	ds_read_b64 v[56:57], v72 offset:2808
	ds_read2_b64 v[52:55], v52 offset0:17 offset1:56
	s_mov_b32 s13, 0x3f167918
	s_mov_b32 s2, 0xbf737871
	;; [unrolled: 1-line block ×4, first 2 shown]
	s_waitcnt vmcnt(4) lgkmcnt(5)
	v_mul_f32_e32 v58, v43, v33
	s_waitcnt lgkmcnt(2)
	v_mul_f32_e32 v63, v37, v35
	v_mul_f32_e32 v64, v36, v35
	s_waitcnt vmcnt(3)
	v_mul_f32_e32 v65, v45, v29
	v_mul_f32_e32 v71, v47, v31
	s_waitcnt vmcnt(2)
	v_mul_f32_e32 v80, v51, v27
	s_waitcnt vmcnt(1) lgkmcnt(0)
	v_mul_f32_e32 v84, v55, v23
	v_mul_f32_e32 v59, v42, v33
	;; [unrolled: 1-line block ×6, first 2 shown]
	v_fma_f32 v58, v42, v32, -v58
	v_fma_f32 v36, v36, v34, -v63
	v_fmac_f32_e32 v64, v37, v34
	v_fma_f32 v37, v44, v28, -v65
	v_fma_f32 v42, v46, v30, -v71
	;; [unrolled: 1-line block ×4, first 2 shown]
	v_mul_f32_e32 v79, v48, v25
	v_mul_f32_e32 v81, v50, v27
	;; [unrolled: 1-line block ×3, first 2 shown]
	s_waitcnt vmcnt(0)
	v_mul_f32_e32 v86, v57, v62
	v_fmac_f32_e32 v66, v45, v28
	v_fma_f32 v45, v52, v20, -v82
	v_fmac_f32_e32 v83, v53, v20
	v_sub_f32_e32 v52, v36, v42
	v_sub_f32_e32 v53, v46, v44
	v_add_f32_e32 v54, v36, v46
	v_mul_f32_e32 v78, v49, v25
	v_mul_f32_e32 v87, v56, v62
	v_fmac_f32_e32 v77, v47, v30
	v_fmac_f32_e32 v79, v49, v24
	;; [unrolled: 1-line block ×4, first 2 shown]
	v_fma_f32 v47, v56, v61, -v86
	v_add_f32_e32 v49, v42, v44
	v_sub_f32_e32 v55, v42, v36
	v_sub_f32_e32 v56, v44, v46
	v_add_f32_e32 v52, v52, v53
	v_fma_f32 v53, -0.5, v54, v40
	v_fmac_f32_e32 v59, v43, v32
	v_fma_f32 v43, v48, v24, -v78
	v_add_f32_e32 v48, v40, v36
	v_sub_f32_e32 v51, v77, v81
	v_fma_f32 v49, -0.5, v49, v40
	v_add_f32_e32 v40, v55, v56
	v_mov_b32_e32 v56, v53
	v_sub_f32_e32 v50, v64, v85
	v_fmac_f32_e32 v53, 0x3f737871, v51
	v_fmac_f32_e32 v56, 0xbf737871, v51
	;; [unrolled: 1-line block ×4, first 2 shown]
	v_mov_b32_e32 v55, v49
	v_fmac_f32_e32 v53, 0x3e9e377a, v40
	v_fmac_f32_e32 v56, 0x3e9e377a, v40
	v_add_f32_e32 v40, v77, v81
	v_fmac_f32_e32 v49, 0xbf737871, v50
	v_fmac_f32_e32 v55, 0x3f737871, v50
	v_fma_f32 v65, -0.5, v40, v41
	v_add_f32_e32 v48, v48, v42
	v_fmac_f32_e32 v49, 0xbf167918, v51
	v_fmac_f32_e32 v55, 0x3f167918, v51
	v_sub_f32_e32 v36, v36, v46
	v_mov_b32_e32 v51, v65
	v_add_f32_e32 v48, v48, v44
	v_fmac_f32_e32 v51, 0xbf737871, v36
	v_sub_f32_e32 v40, v42, v44
	v_sub_f32_e32 v42, v64, v77
	;; [unrolled: 1-line block ×3, first 2 shown]
	v_fmac_f32_e32 v65, 0x3f737871, v36
	v_fmac_f32_e32 v51, 0xbf167918, v40
	v_add_f32_e32 v42, v42, v44
	v_fmac_f32_e32 v65, 0x3f167918, v40
	v_fmac_f32_e32 v51, 0x3e9e377a, v42
	v_fmac_f32_e32 v65, 0x3e9e377a, v42
	v_add_f32_e32 v42, v64, v85
	v_fma_f32 v71, -0.5, v42, v41
	v_mov_b32_e32 v78, v71
	v_fmac_f32_e32 v87, v57, v61
	v_add_f32_e32 v57, v41, v64
	v_fmac_f32_e32 v78, 0x3f737871, v40
	v_sub_f32_e32 v41, v77, v64
	v_sub_f32_e32 v42, v81, v85
	v_fmac_f32_e32 v71, 0xbf737871, v40
	v_add_f32_e32 v40, v43, v45
	v_fmac_f32_e32 v78, 0xbf167918, v36
	v_add_f32_e32 v41, v41, v42
	v_fmac_f32_e32 v71, 0x3f167918, v36
	v_fma_f32 v50, -0.5, v40, v58
	v_fmac_f32_e32 v78, 0x3e9e377a, v41
	v_fmac_f32_e32 v71, 0x3e9e377a, v41
	v_sub_f32_e32 v40, v66, v87
	v_mov_b32_e32 v41, v50
	v_add_f32_e32 v48, v48, v46
	v_fmac_f32_e32 v41, 0x3f737871, v40
	v_sub_f32_e32 v42, v79, v83
	v_sub_f32_e32 v44, v37, v43
	;; [unrolled: 1-line block ×3, first 2 shown]
	v_fmac_f32_e32 v50, 0xbf737871, v40
	v_fmac_f32_e32 v41, 0x3f167918, v42
	v_add_f32_e32 v44, v44, v46
	v_fmac_f32_e32 v50, 0xbf167918, v42
	v_fmac_f32_e32 v41, 0x3e9e377a, v44
	;; [unrolled: 1-line block ×3, first 2 shown]
	v_add_f32_e32 v44, v37, v47
	v_add_f32_e32 v36, v58, v37
	v_fmac_f32_e32 v58, -0.5, v44
	v_fmac_f32_e32 v49, 0x3e9e377a, v52
	v_fmac_f32_e32 v55, 0x3e9e377a, v52
	v_mov_b32_e32 v52, v58
	v_fmac_f32_e32 v52, 0xbf737871, v42
	v_fmac_f32_e32 v58, 0x3f737871, v42
	v_fmac_f32_e32 v52, 0x3f167918, v40
	v_fmac_f32_e32 v58, 0xbf167918, v40
	v_add_f32_e32 v40, v59, v66
	v_add_f32_e32 v40, v40, v79
	;; [unrolled: 1-line block ×10, first 2 shown]
	v_fma_f32 v54, -0.5, v40, v59
	v_add_f32_e32 v36, v36, v47
	v_sub_f32_e32 v44, v43, v37
	v_sub_f32_e32 v46, v45, v47
	v_sub_f32_e32 v37, v37, v47
	v_mov_b32_e32 v47, v54
	v_fmac_f32_e32 v47, 0xbf737871, v37
	v_sub_f32_e32 v40, v43, v45
	v_sub_f32_e32 v42, v66, v79
	;; [unrolled: 1-line block ×3, first 2 shown]
	v_fmac_f32_e32 v54, 0x3f737871, v37
	v_fmac_f32_e32 v47, 0xbf167918, v40
	v_add_f32_e32 v42, v42, v43
	v_fmac_f32_e32 v54, 0x3f167918, v40
	v_fmac_f32_e32 v47, 0x3e9e377a, v42
	;; [unrolled: 1-line block ×3, first 2 shown]
	v_add_f32_e32 v42, v66, v87
	v_add_f32_e32 v44, v44, v46
	v_fmac_f32_e32 v59, -0.5, v42
	v_fmac_f32_e32 v52, 0x3e9e377a, v44
	v_fmac_f32_e32 v58, 0x3e9e377a, v44
	v_mov_b32_e32 v43, v59
	v_sub_f32_e32 v42, v79, v66
	v_sub_f32_e32 v44, v83, v87
	v_fmac_f32_e32 v59, 0xbf737871, v40
	v_fmac_f32_e32 v43, 0x3f737871, v40
	v_add_f32_e32 v42, v42, v44
	v_fmac_f32_e32 v59, 0x3f167918, v37
	v_fmac_f32_e32 v43, 0xbf167918, v37
	;; [unrolled: 1-line block ×3, first 2 shown]
	v_mul_f32_e32 v45, 0x3f4f1bbd, v50
	v_fmac_f32_e32 v43, 0x3e9e377a, v42
	v_mul_f32_e32 v37, 0x3f167918, v47
	v_fma_f32 v80, v54, s13, -v45
	v_mul_f32_e32 v81, 0xbf167918, v41
	v_mul_f32_e32 v45, 0x3e9e377a, v59
	v_fmac_f32_e32 v37, 0x3f4f1bbd, v41
	v_mul_f32_e32 v66, 0x3f737871, v43
	v_mul_f32_e32 v44, 0x3e9e377a, v58
	v_fmac_f32_e32 v81, 0x3f4f1bbd, v47
	v_mul_f32_e32 v82, 0xbf737871, v52
	v_fma_f32 v58, v58, s2, -v45
	v_mul_f32_e32 v47, 0x3f4f1bbd, v54
	v_add_f32_e32 v40, v55, v37
	v_fmac_f32_e32 v66, 0x3e9e377a, v52
	v_fma_f32 v79, v59, s12, -v44
	v_fmac_f32_e32 v82, 0x3e9e377a, v43
	v_add_f32_e32 v45, v71, v58
	v_fma_f32 v59, v50, s3, -v47
	v_sub_f32_e32 v50, v55, v37
	v_sub_f32_e32 v55, v71, v58
	v_lshl_add_u32 v71, v68, 3, v69
	v_add_f32_e32 v63, v48, v36
	v_add_f32_e32 v42, v56, v66
	;; [unrolled: 1-line block ×8, first 2 shown]
	v_sub_f32_e32 v48, v48, v36
	v_sub_f32_e32 v52, v56, v66
	;; [unrolled: 1-line block ×8, first 2 shown]
	v_add_u32_e32 v56, 0x800, v71
	ds_write_b64 v71, v[63:64]
	ds_write2_b64 v71, v[40:41], v[42:43] offset0:39 offset1:78
	ds_write2_b64 v71, v[44:45], v[46:47] offset0:117 offset1:156
	;; [unrolled: 1-line block ×4, first 2 shown]
	ds_write_b64 v71, v[36:37] offset:2808
	s_waitcnt lgkmcnt(0)
	s_barrier
	s_and_saveexec_b64 s[2:3], vcc
	s_cbranch_execz .LBB0_13
; %bb.12:
	global_load_dwordx2 v[57:58], v67, s[8:9] offset:3120
	s_add_u32 s12, s8, 0xc30
	s_addc_u32 s13, s9, 0
	global_load_dwordx2 v[65:66], v67, s[12:13] offset:240
	global_load_dwordx2 v[101:102], v67, s[12:13] offset:480
	global_load_dwordx2 v[103:104], v67, s[12:13] offset:720
	global_load_dwordx2 v[105:106], v67, s[12:13] offset:960
	global_load_dwordx2 v[107:108], v67, s[12:13] offset:1200
	global_load_dwordx2 v[109:110], v67, s[12:13] offset:1440
	global_load_dwordx2 v[111:112], v67, s[12:13] offset:1680
	global_load_dwordx2 v[113:114], v67, s[12:13] offset:1920
	global_load_dwordx2 v[115:116], v67, s[12:13] offset:2160
	global_load_dwordx2 v[117:118], v67, s[12:13] offset:2400
	global_load_dwordx2 v[119:120], v67, s[12:13] offset:2640
	global_load_dwordx2 v[121:122], v67, s[12:13] offset:2880
	ds_read_b64 v[77:78], v71
	s_waitcnt vmcnt(12) lgkmcnt(0)
	v_mul_f32_e32 v79, v78, v58
	v_mul_f32_e32 v59, v77, v58
	v_fma_f32 v58, v77, v57, -v79
	v_fmac_f32_e32 v59, v78, v57
	ds_write_b64 v71, v[58:59]
	ds_read2_b64 v[77:80], v71 offset0:30 offset1:60
	ds_read2_b64 v[81:84], v71 offset0:90 offset1:120
	;; [unrolled: 1-line block ×6, first 2 shown]
	s_waitcnt vmcnt(11) lgkmcnt(5)
	v_mul_f32_e32 v57, v78, v66
	v_mul_f32_e32 v58, v77, v66
	s_waitcnt vmcnt(10)
	v_mul_f32_e32 v59, v80, v102
	v_mul_f32_e32 v66, v79, v102
	s_waitcnt vmcnt(9) lgkmcnt(4)
	v_mul_f32_e32 v123, v82, v104
	v_mul_f32_e32 v102, v81, v104
	s_waitcnt vmcnt(8)
	v_mul_f32_e32 v124, v84, v106
	v_mul_f32_e32 v104, v83, v106
	;; [unrolled: 6-line block ×6, first 2 shown]
	v_fma_f32 v57, v77, v65, -v57
	v_fmac_f32_e32 v58, v78, v65
	v_fma_f32 v65, v79, v101, -v59
	v_fmac_f32_e32 v66, v80, v101
	;; [unrolled: 2-line block ×12, first 2 shown]
	ds_write2_b64 v71, v[57:58], v[65:66] offset0:30 offset1:60
	ds_write2_b64 v71, v[101:102], v[103:104] offset0:90 offset1:120
	;; [unrolled: 1-line block ×6, first 2 shown]
.LBB0_13:
	s_or_b64 exec, exec, s[2:3]
	s_waitcnt lgkmcnt(0)
	s_barrier
	s_and_saveexec_b64 s[2:3], vcc
	s_cbranch_execz .LBB0_15
; %bb.14:
	ds_read_b64 v[63:64], v71
	ds_read2_b64 v[40:43], v71 offset0:30 offset1:60
	ds_read2_b64 v[44:47], v71 offset0:90 offset1:120
	;; [unrolled: 1-line block ×4, first 2 shown]
	v_add_u32_e32 v0, 0x800, v71
	ds_read2_b64 v[36:39], v0 offset0:14 offset1:44
	ds_read2_b64 v[0:3], v0 offset0:74 offset1:104
.LBB0_15:
	s_or_b64 exec, exec, s[2:3]
	s_waitcnt lgkmcnt(0)
	v_sub_f32_e32 v88, v41, v3
	v_add_f32_e32 v77, v2, v40
	v_add_f32_e32 v90, v3, v41
	s_mov_b32 s12, 0x3f116cb1
	v_mul_f32_e32 v92, 0xbf52af12, v88
	v_sub_f32_e32 v91, v43, v1
	v_mul_f32_e32 v95, 0x3f116cb1, v90
	v_fma_f32 v56, v77, s12, -v92
	s_mov_b32 s14, 0xbeb58ec6
	v_add_f32_e32 v79, v0, v42
	v_add_f32_e32 v93, v1, v43
	v_mul_f32_e32 v96, 0xbf6f5d39, v91
	v_sub_f32_e32 v78, v40, v2
	v_add_f32_e32 v56, v63, v56
	v_mov_b32_e32 v57, v95
	v_mul_f32_e32 v100, 0xbeb58ec6, v93
	v_fma_f32 v81, v79, s14, -v96
	v_fmac_f32_e32 v57, 0xbf52af12, v78
	s_mov_b32 s13, 0x3df6dbef
	v_mul_f32_e32 v99, 0xbf7e222b, v88
	v_sub_f32_e32 v80, v42, v0
	v_add_f32_e32 v56, v81, v56
	v_mov_b32_e32 v81, v100
	v_add_f32_e32 v57, v64, v57
	v_mul_f32_e32 v101, 0x3df6dbef, v90
	v_fma_f32 v58, v77, s13, -v99
	v_fmac_f32_e32 v81, 0xbf6f5d39, v80
	s_mov_b32 s15, 0xbf788fa5
	v_mul_f32_e32 v105, 0xbe750f2a, v91
	v_add_f32_e32 v58, v63, v58
	v_mov_b32_e32 v59, v101
	v_add_f32_e32 v57, v81, v57
	v_mul_f32_e32 v108, 0xbf788fa5, v93
	v_fma_f32 v81, v79, s15, -v105
	v_fmac_f32_e32 v59, 0xbf7e222b, v78
	v_mul_f32_e32 v107, 0xbf6f5d39, v88
	v_add_f32_e32 v58, v81, v58
	v_mov_b32_e32 v81, v108
	v_add_f32_e32 v59, v64, v59
	v_mul_f32_e32 v112, 0xbeb58ec6, v90
	v_fma_f32 v65, v77, s14, -v107
	v_fmac_f32_e32 v81, 0xbe750f2a, v80
	s_mov_b32 s16, 0xbf3f9e67
	v_mul_f32_e32 v115, 0x3f29c268, v91
	v_add_f32_e32 v65, v63, v65
	v_mov_b32_e32 v66, v112
	v_add_f32_e32 v59, v81, v59
	v_mul_f32_e32 v119, 0xbf3f9e67, v93
	v_fma_f32 v81, v79, s16, -v115
	v_fmac_f32_e32 v66, 0xbf6f5d39, v78
	v_add_f32_e32 v65, v81, v65
	v_mov_b32_e32 v81, v119
	v_add_f32_e32 v66, v64, v66
	v_fmac_f32_e32 v81, 0x3f29c268, v80
	v_sub_f32_e32 v94, v45, v39
	v_add_f32_e32 v66, v81, v66
	v_add_f32_e32 v81, v38, v44
	v_add_f32_e32 v97, v39, v45
	v_mul_f32_e32 v102, 0xbe750f2a, v94
	v_mul_f32_e32 v106, 0xbf788fa5, v97
	v_fma_f32 v83, v81, s15, -v102
	v_sub_f32_e32 v82, v44, v38
	v_add_f32_e32 v56, v83, v56
	v_mov_b32_e32 v83, v106
	v_fmac_f32_e32 v83, 0xbe750f2a, v82
	v_mul_f32_e32 v113, 0x3f6f5d39, v94
	v_add_f32_e32 v57, v83, v57
	v_mul_f32_e32 v116, 0xbeb58ec6, v97
	v_fma_f32 v83, v81, s14, -v113
	v_add_f32_e32 v58, v83, v58
	v_mov_b32_e32 v83, v116
	v_fmac_f32_e32 v83, 0x3f6f5d39, v82
	s_mov_b32 s17, 0x3f62ad3f
	v_mul_f32_e32 v122, 0x3eedf032, v94
	v_add_f32_e32 v59, v83, v59
	v_mul_f32_e32 v125, 0x3f62ad3f, v97
	v_fma_f32 v83, v81, s17, -v122
	v_add_f32_e32 v65, v83, v65
	v_mov_b32_e32 v83, v125
	v_fmac_f32_e32 v83, 0x3eedf032, v82
	v_sub_f32_e32 v98, v47, v37
	v_add_f32_e32 v66, v83, v66
	v_add_f32_e32 v83, v36, v46
	;; [unrolled: 1-line block ×3, first 2 shown]
	v_mul_f32_e32 v110, 0x3f29c268, v98
	v_mul_f32_e32 v114, 0xbf3f9e67, v104
	v_fma_f32 v85, v83, s16, -v110
	v_sub_f32_e32 v84, v46, v36
	v_add_f32_e32 v56, v85, v56
	v_mov_b32_e32 v85, v114
	v_fmac_f32_e32 v85, 0x3f29c268, v84
	v_mul_f32_e32 v120, 0x3eedf032, v98
	v_add_f32_e32 v57, v85, v57
	v_mul_f32_e32 v123, 0x3f62ad3f, v104
	v_fma_f32 v85, v83, s17, -v120
	v_add_f32_e32 v58, v85, v58
	v_mov_b32_e32 v85, v123
	v_fmac_f32_e32 v85, 0x3eedf032, v84
	v_mul_f32_e32 v128, 0xbf7e222b, v98
	v_add_f32_e32 v59, v85, v59
	v_mul_f32_e32 v130, 0x3df6dbef, v104
	v_fma_f32 v85, v83, s13, -v128
	v_add_f32_e32 v65, v85, v65
	v_mov_b32_e32 v85, v130
	v_fmac_f32_e32 v85, 0xbf7e222b, v84
	v_sub_f32_e32 v103, v49, v55
	v_add_f32_e32 v66, v85, v66
	v_add_f32_e32 v85, v54, v48
	;; [unrolled: 1-line block ×3, first 2 shown]
	v_mul_f32_e32 v118, 0x3f7e222b, v103
	v_mul_f32_e32 v121, 0x3df6dbef, v111
	v_fma_f32 v87, v85, s13, -v118
	v_sub_f32_e32 v86, v48, v54
	v_add_f32_e32 v56, v87, v56
	v_mov_b32_e32 v87, v121
	v_fmac_f32_e32 v87, 0x3f7e222b, v86
	v_mul_f32_e32 v126, 0xbf52af12, v103
	v_add_f32_e32 v57, v87, v57
	v_mul_f32_e32 v129, 0x3f116cb1, v111
	v_fma_f32 v87, v85, s12, -v126
	v_add_f32_e32 v135, v87, v58
	v_mov_b32_e32 v58, v129
	v_fmac_f32_e32 v58, 0xbf52af12, v86
	v_mul_f32_e32 v132, 0x3e750f2a, v103
	v_add_f32_e32 v136, v58, v59
	v_mul_f32_e32 v134, 0xbf788fa5, v111
	v_fma_f32 v58, v85, s15, -v132
	v_add_f32_e32 v65, v58, v65
	v_mov_b32_e32 v58, v134
	v_sub_f32_e32 v109, v51, v53
	v_fmac_f32_e32 v58, 0x3e750f2a, v86
	v_add_f32_e32 v87, v52, v50
	v_add_f32_e32 v117, v53, v51
	v_mul_f32_e32 v124, 0x3eedf032, v109
	v_add_f32_e32 v66, v58, v66
	v_mul_f32_e32 v127, 0x3f62ad3f, v117
	v_fma_f32 v58, v87, s17, -v124
	v_sub_f32_e32 v89, v50, v52
	v_add_f32_e32 v58, v58, v56
	v_mov_b32_e32 v56, v127
	v_fmac_f32_e32 v56, 0x3eedf032, v89
	v_mul_f32_e32 v131, 0xbf29c268, v109
	v_mul_f32_e32 v133, 0xbf3f9e67, v117
	v_add_f32_e32 v59, v56, v57
	v_fma_f32 v56, v87, s16, -v131
	v_mov_b32_e32 v57, v133
	v_add_f32_e32 v56, v56, v135
	v_fmac_f32_e32 v57, 0xbf29c268, v89
	v_mul_f32_e32 v135, 0x3f52af12, v109
	v_add_f32_e32 v57, v57, v136
	v_mul_f32_e32 v136, 0x3f116cb1, v117
	v_fma_f32 v137, v87, s12, -v135
	v_add_f32_e32 v65, v137, v65
	v_mov_b32_e32 v137, v136
	v_fmac_f32_e32 v137, 0x3f52af12, v89
	v_add_f32_e32 v66, v137, v66
	s_barrier
	s_and_saveexec_b64 s[2:3], vcc
	s_cbranch_execz .LBB0_17
; %bb.16:
	v_mul_f32_e32 v146, 0xbf6f5d39, v78
	v_mul_f32_e32 v152, 0x3f29c268, v80
	;; [unrolled: 1-line block ×3, first 2 shown]
	v_sub_f32_e32 v112, v112, v146
	v_mul_f32_e32 v158, 0x3eedf032, v82
	v_mov_b32_e32 v137, v177
	v_mul_f32_e32 v178, 0x3f62ad3f, v93
	v_add_f32_e32 v112, v64, v112
	v_sub_f32_e32 v119, v119, v152
	v_mul_f32_e32 v164, 0xbf7e222b, v84
	v_fmac_f32_e32 v137, 0x3e750f2a, v78
	v_mov_b32_e32 v138, v178
	v_add_f32_e32 v112, v119, v112
	v_sub_f32_e32 v119, v125, v158
	v_mul_f32_e32 v170, 0x3e750f2a, v86
	v_add_f32_e32 v137, v64, v137
	v_fmac_f32_e32 v138, 0xbeedf032, v80
	v_mul_f32_e32 v179, 0xbf3f9e67, v97
	v_add_f32_e32 v112, v119, v112
	v_sub_f32_e32 v119, v130, v164
	v_mul_f32_e32 v145, 0xbeb58ec6, v77
	v_mul_f32_e32 v176, 0x3f52af12, v89
	v_add_f32_e32 v137, v138, v137
	v_mov_b32_e32 v138, v179
	v_add_f32_e32 v112, v119, v112
	v_sub_f32_e32 v119, v134, v170
	v_add_f32_e32 v41, v41, v64
	v_mul_f32_e32 v151, 0xbf3f9e67, v79
	v_fmac_f32_e32 v138, 0x3f29c268, v82
	v_mul_f32_e32 v180, 0x3f116cb1, v104
	v_add_f32_e32 v112, v119, v112
	v_sub_f32_e32 v119, v136, v176
	v_add_f32_e32 v107, v145, v107
	v_add_f32_e32 v41, v43, v41
	v_mul_f32_e32 v157, 0x3f62ad3f, v81
	v_add_f32_e32 v137, v138, v137
	v_mov_b32_e32 v138, v180
	v_add_f32_e32 v136, v119, v112
	v_add_f32_e32 v107, v63, v107
	;; [unrolled: 1-line block ×4, first 2 shown]
	v_mul_f32_e32 v163, 0x3df6dbef, v83
	v_fmac_f32_e32 v138, 0xbf52af12, v84
	v_mul_f32_e32 v181, 0xbeb58ec6, v111
	v_add_f32_e32 v107, v112, v107
	v_add_f32_e32 v112, v157, v122
	;; [unrolled: 1-line block ×3, first 2 shown]
	v_mul_f32_e32 v169, 0xbf788fa5, v85
	v_add_f32_e32 v137, v138, v137
	v_mov_b32_e32 v138, v181
	v_add_f32_e32 v107, v112, v107
	v_add_f32_e32 v112, v163, v128
	;; [unrolled: 1-line block ×3, first 2 shown]
	v_mul_f32_e32 v144, 0xbf7e222b, v78
	v_mul_f32_e32 v175, 0x3f116cb1, v87
	v_fmac_f32_e32 v138, 0x3f6f5d39, v86
	v_mul_f32_e32 v182, 0x3df6dbef, v117
	v_add_f32_e32 v107, v112, v107
	v_add_f32_e32 v112, v169, v132
	;; [unrolled: 1-line block ×3, first 2 shown]
	v_mul_f32_e32 v150, 0xbe750f2a, v80
	v_add_f32_e32 v137, v138, v137
	v_mov_b32_e32 v138, v182
	v_add_f32_e32 v107, v112, v107
	v_add_f32_e32 v112, v175, v135
	v_sub_f32_e32 v101, v101, v144
	v_add_f32_e32 v41, v53, v41
	v_mul_f32_e32 v156, 0x3f6f5d39, v82
	v_fmac_f32_e32 v138, 0xbf7e222b, v89
	v_mul_f32_e32 v183, 0xbe750f2a, v88
	v_add_f32_e32 v135, v112, v107
	v_add_f32_e32 v101, v64, v101
	v_sub_f32_e32 v107, v108, v150
	v_add_f32_e32 v41, v55, v41
	v_mul_f32_e32 v162, 0x3eedf032, v84
	v_add_f32_e32 v138, v138, v137
	v_mov_b32_e32 v137, v183
	v_mul_f32_e32 v184, 0x3eedf032, v91
	v_add_f32_e32 v101, v107, v101
	v_sub_f32_e32 v107, v116, v156
	v_add_f32_e32 v37, v37, v41
	v_mul_f32_e32 v168, 0xbf52af12, v86
	v_fmac_f32_e32 v137, 0xbf788fa5, v77
	v_mov_b32_e32 v139, v184
	v_add_f32_e32 v101, v107, v101
	v_sub_f32_e32 v107, v123, v162
	v_add_f32_e32 v37, v39, v37
	v_mul_f32_e32 v143, 0x3df6dbef, v77
	v_mul_f32_e32 v174, 0xbf29c268, v89
	v_add_f32_e32 v137, v63, v137
	v_fmac_f32_e32 v139, 0x3f62ad3f, v79
	v_mul_f32_e32 v185, 0xbf29c268, v94
	v_add_f32_e32 v101, v107, v101
	v_sub_f32_e32 v107, v129, v168
	v_add_f32_e32 v1, v1, v37
	v_mul_f32_e32 v149, 0xbf788fa5, v79
	v_add_f32_e32 v137, v139, v137
	v_mov_b32_e32 v139, v185
	v_add_f32_e32 v101, v107, v101
	v_sub_f32_e32 v107, v133, v174
	v_add_f32_e32 v99, v143, v99
	v_add_f32_e32 v1, v3, v1
	;; [unrolled: 1-line block ×3, first 2 shown]
	v_mul_f32_e32 v155, 0xbeb58ec6, v81
	v_fmac_f32_e32 v139, 0xbf3f9e67, v81
	v_mul_f32_e32 v186, 0x3f52af12, v98
	v_add_f32_e32 v108, v107, v101
	v_add_f32_e32 v99, v63, v99
	;; [unrolled: 1-line block ×4, first 2 shown]
	v_mul_f32_e32 v161, 0x3f62ad3f, v83
	v_add_f32_e32 v137, v139, v137
	v_mov_b32_e32 v139, v186
	v_add_f32_e32 v99, v101, v99
	v_add_f32_e32 v101, v155, v113
	;; [unrolled: 1-line block ×3, first 2 shown]
	v_mul_f32_e32 v167, 0x3f116cb1, v85
	v_fmac_f32_e32 v139, 0x3f116cb1, v83
	v_mul_f32_e32 v187, 0xbf6f5d39, v103
	v_add_f32_e32 v99, v101, v99
	v_add_f32_e32 v101, v161, v120
	;; [unrolled: 1-line block ×3, first 2 shown]
	v_mul_f32_e32 v142, 0xbf52af12, v78
	v_mul_f32_e32 v173, 0xbf3f9e67, v87
	v_add_f32_e32 v137, v139, v137
	v_mov_b32_e32 v139, v187
	v_add_f32_e32 v99, v101, v99
	v_add_f32_e32 v101, v167, v126
	;; [unrolled: 1-line block ×3, first 2 shown]
	v_mul_f32_e32 v148, 0xbf6f5d39, v80
	v_fmac_f32_e32 v139, 0xbeb58ec6, v85
	v_mul_f32_e32 v188, 0x3f7e222b, v109
	v_add_f32_e32 v99, v101, v99
	v_add_f32_e32 v101, v173, v131
	v_sub_f32_e32 v95, v95, v142
	v_add_f32_e32 v3, v50, v3
	v_mul_f32_e32 v154, 0xbe750f2a, v82
	v_add_f32_e32 v137, v139, v137
	v_mov_b32_e32 v139, v188
	v_add_f32_e32 v107, v101, v99
	v_add_f32_e32 v95, v64, v95
	v_sub_f32_e32 v99, v100, v148
	v_add_f32_e32 v3, v52, v3
	v_mul_f32_e32 v160, 0x3f29c268, v84
	v_fmac_f32_e32 v139, 0x3df6dbef, v87
	v_mul_f32_e32 v189, 0xbf3f9e67, v90
	v_add_f32_e32 v95, v99, v95
	v_sub_f32_e32 v99, v106, v154
	v_add_f32_e32 v3, v54, v3
	v_mul_f32_e32 v166, 0x3f7e222b, v86
	v_add_f32_e32 v137, v139, v137
	v_mov_b32_e32 v139, v189
	v_mul_f32_e32 v190, 0x3df6dbef, v93
	v_add_f32_e32 v95, v99, v95
	v_sub_f32_e32 v99, v114, v160
	v_add_f32_e32 v3, v36, v3
	v_mul_f32_e32 v141, 0x3f116cb1, v77
	v_mul_f32_e32 v172, 0x3eedf032, v89
	v_fmac_f32_e32 v139, 0x3f29c268, v78
	v_mov_b32_e32 v140, v190
	v_add_f32_e32 v95, v99, v95
	v_sub_f32_e32 v99, v121, v166
	v_add_f32_e32 v3, v38, v3
	v_mul_f32_e32 v147, 0xbeb58ec6, v79
	v_add_f32_e32 v139, v64, v139
	v_fmac_f32_e32 v140, 0xbf7e222b, v80
	v_mul_f32_e32 v191, 0x3f116cb1, v97
	v_add_f32_e32 v95, v99, v95
	v_sub_f32_e32 v99, v127, v172
	v_add_f32_e32 v92, v141, v92
	v_add_f32_e32 v0, v0, v3
	v_fmac_f32_e32 v177, 0xbe750f2a, v78
	v_mul_f32_e32 v153, 0xbf788fa5, v81
	v_add_f32_e32 v139, v140, v139
	v_mov_b32_e32 v140, v191
	v_add_f32_e32 v100, v99, v95
	v_add_f32_e32 v92, v63, v92
	;; [unrolled: 1-line block ×5, first 2 shown]
	v_fmac_f32_e32 v178, 0x3eedf032, v80
	v_mul_f32_e32 v159, 0xbf3f9e67, v83
	v_fmac_f32_e32 v140, 0x3f52af12, v82
	v_mul_f32_e32 v192, 0xbf788fa5, v104
	v_add_f32_e32 v92, v95, v92
	v_add_f32_e32 v95, v153, v102
	;; [unrolled: 1-line block ×3, first 2 shown]
	v_fmac_f32_e32 v179, 0xbf29c268, v82
	v_mul_f32_e32 v165, 0x3df6dbef, v85
	v_add_f32_e32 v139, v140, v139
	v_mov_b32_e32 v140, v192
	v_add_f32_e32 v92, v95, v92
	v_add_f32_e32 v95, v159, v110
	;; [unrolled: 1-line block ×3, first 2 shown]
	v_fmac_f32_e32 v180, 0x3f52af12, v84
	v_mul_f32_e32 v171, 0x3f62ad3f, v87
	v_fmac_f32_e32 v140, 0xbe750f2a, v84
	v_mul_f32_e32 v193, 0x3f62ad3f, v111
	v_add_f32_e32 v92, v95, v92
	v_add_f32_e32 v95, v165, v118
	;; [unrolled: 1-line block ×3, first 2 shown]
	v_fmac_f32_e32 v181, 0xbf6f5d39, v86
	v_add_f32_e32 v139, v140, v139
	v_mov_b32_e32 v140, v193
	v_add_f32_e32 v92, v95, v92
	v_add_f32_e32 v95, v171, v124
	v_mul_f32_e32 v90, 0x3f62ad3f, v90
	v_add_f32_e32 v2, v181, v2
	v_fmac_f32_e32 v182, 0x3f7e222b, v89
	v_fmac_f32_e32 v140, 0xbeedf032, v86
	v_mul_f32_e32 v194, 0xbeb58ec6, v117
	v_add_f32_e32 v99, v95, v92
	v_mov_b32_e32 v92, v90
	v_mul_f32_e32 v93, 0x3f116cb1, v93
	v_add_f32_e32 v3, v182, v2
	v_fma_f32 v2, v77, s15, -v183
	v_add_f32_e32 v139, v140, v139
	v_mov_b32_e32 v140, v194
	v_fmac_f32_e32 v92, 0x3eedf032, v78
	v_mov_b32_e32 v95, v93
	v_add_f32_e32 v2, v63, v2
	v_fma_f32 v36, v79, s17, -v184
	v_fmac_f32_e32 v140, 0x3f6f5d39, v89
	v_mul_f32_e32 v195, 0xbf29c268, v88
	v_add_f32_e32 v92, v64, v92
	v_fmac_f32_e32 v95, 0x3f52af12, v80
	v_add_f32_e32 v2, v36, v2
	v_fma_f32 v36, v81, s16, -v185
	v_add_f32_e32 v140, v140, v139
	v_mov_b32_e32 v139, v195
	v_mul_f32_e32 v196, 0x3f7e222b, v91
	v_add_f32_e32 v92, v95, v92
	v_mul_f32_e32 v95, 0x3df6dbef, v97
	v_add_f32_e32 v2, v36, v2
	v_fma_f32 v36, v83, s12, -v186
	v_fmac_f32_e32 v139, 0xbf3f9e67, v77
	v_mov_b32_e32 v197, v196
	v_mov_b32_e32 v96, v95
	v_add_f32_e32 v2, v36, v2
	v_fma_f32 v36, v85, s14, -v187
	v_add_f32_e32 v139, v63, v139
	v_fmac_f32_e32 v197, 0x3df6dbef, v79
	v_fmac_f32_e32 v96, 0x3f7e222b, v82
	v_add_f32_e32 v2, v36, v2
	v_fma_f32 v36, v87, s13, -v188
	v_fmac_f32_e32 v189, 0xbf29c268, v78
	v_add_f32_e32 v139, v197, v139
	v_mul_f32_e32 v197, 0xbf52af12, v94
	v_add_f32_e32 v92, v96, v92
	v_mul_f32_e32 v96, 0xbeb58ec6, v104
	v_add_f32_e32 v2, v36, v2
	v_add_f32_e32 v36, v64, v189
	v_fmac_f32_e32 v190, 0x3f7e222b, v80
	v_mov_b32_e32 v198, v197
	v_mov_b32_e32 v97, v96
	v_add_f32_e32 v36, v190, v36
	v_fmac_f32_e32 v191, 0xbf52af12, v82
	v_fmac_f32_e32 v198, 0x3f116cb1, v81
	v_fmac_f32_e32 v97, 0x3f6f5d39, v84
	v_add_f32_e32 v36, v191, v36
	v_fmac_f32_e32 v192, 0x3e750f2a, v84
	v_add_f32_e32 v139, v198, v139
	v_mul_f32_e32 v198, 0x3e750f2a, v98
	v_add_f32_e32 v92, v97, v92
	v_mul_f32_e32 v97, 0xbf3f9e67, v111
	v_add_f32_e32 v36, v192, v36
	v_fmac_f32_e32 v193, 0x3eedf032, v86
	v_mov_b32_e32 v199, v198
	v_mov_b32_e32 v101, v97
	v_add_f32_e32 v36, v193, v36
	v_fmac_f32_e32 v194, 0xbf6f5d39, v89
	v_fmac_f32_e32 v199, 0xbf788fa5, v83
	;; [unrolled: 1-line block ×3, first 2 shown]
	v_add_f32_e32 v37, v194, v36
	v_fma_f32 v36, v77, s16, -v195
	v_add_f32_e32 v139, v199, v139
	v_mul_f32_e32 v199, 0x3eedf032, v103
	v_add_f32_e32 v92, v101, v92
	v_mul_f32_e32 v101, 0xbf788fa5, v117
	v_add_f32_e32 v36, v63, v36
	v_fma_f32 v38, v79, s13, -v196
	v_mov_b32_e32 v200, v199
	v_mov_b32_e32 v102, v101
	v_add_f32_e32 v36, v38, v36
	v_fma_f32 v38, v81, s12, -v197
	v_fmac_f32_e32 v200, 0x3f62ad3f, v85
	v_fmac_f32_e32 v102, 0x3e750f2a, v89
	v_mul_f32_e32 v88, 0xbeedf032, v88
	v_add_f32_e32 v36, v38, v36
	v_fma_f32 v38, v83, s15, -v198
	v_add_f32_e32 v139, v200, v139
	v_mul_f32_e32 v200, 0xbf6f5d39, v109
	v_add_f32_e32 v92, v102, v92
	v_mov_b32_e32 v102, v88
	v_mul_f32_e32 v104, 0xbf52af12, v91
	v_add_f32_e32 v36, v38, v36
	v_fma_f32 v38, v85, s17, -v199
	v_fmac_f32_e32 v102, 0x3f62ad3f, v77
	v_mov_b32_e32 v91, v104
	v_add_f32_e32 v36, v38, v36
	v_fma_f32 v38, v87, s14, -v200
	v_fmac_f32_e32 v90, 0xbeedf032, v78
	v_add_f32_e32 v102, v63, v102
	v_fmac_f32_e32 v91, 0x3f116cb1, v79
	v_mul_f32_e32 v94, 0xbf7e222b, v94
	v_add_f32_e32 v36, v38, v36
	v_add_f32_e32 v38, v64, v90
	v_fmac_f32_e32 v93, 0xbf52af12, v80
	v_add_f32_e32 v91, v91, v102
	v_mov_b32_e32 v102, v94
	v_add_f32_e32 v38, v93, v38
	v_fmac_f32_e32 v95, 0xbf7e222b, v82
	v_fmac_f32_e32 v102, 0x3df6dbef, v81
	v_mul_f32_e32 v98, 0xbf6f5d39, v98
	v_add_f32_e32 v38, v95, v38
	v_fmac_f32_e32 v96, 0xbf6f5d39, v84
	v_add_f32_e32 v91, v102, v91
	v_mov_b32_e32 v102, v98
	v_add_f32_e32 v38, v96, v38
	v_fmac_f32_e32 v97, 0xbf29c268, v86
	v_fmac_f32_e32 v102, 0xbeb58ec6, v83
	v_add_f32_e32 v38, v97, v38
	v_fmac_f32_e32 v101, 0xbe750f2a, v89
	v_add_f32_e32 v91, v102, v91
	v_mul_f32_e32 v102, 0xbf29c268, v103
	v_add_f32_e32 v39, v101, v38
	v_fma_f32 v38, v77, s17, -v88
	v_mov_b32_e32 v103, v102
	v_add_f32_e32 v38, v63, v38
	v_fma_f32 v40, v79, s12, -v104
	v_fmac_f32_e32 v103, 0xbf3f9e67, v85
	v_add_f32_e32 v38, v40, v38
	v_fma_f32 v40, v81, s13, -v94
	v_add_f32_e32 v91, v103, v91
	v_mul_f32_e32 v103, 0xbe750f2a, v109
	v_add_f32_e32 v38, v40, v38
	v_fma_f32 v40, v83, s14, -v98
	v_mov_b32_e32 v105, v103
	v_add_f32_e32 v38, v40, v38
	v_fma_f32 v40, v85, s16, -v102
	v_mov_b32_e32 v201, v200
	v_fmac_f32_e32 v105, 0xbf788fa5, v87
	v_add_f32_e32 v38, v40, v38
	v_fma_f32 v40, v87, s15, -v103
	v_fmac_f32_e32 v201, 0xbeb58ec6, v87
	v_add_f32_e32 v91, v105, v91
	v_add_f32_e32 v38, v40, v38
	v_lshl_add_u32 v40, v70, 3, v69
	v_add_f32_e32 v139, v201, v139
	ds_write2_b64 v40, v[0:1], v[91:92] offset1:1
	ds_write2_b64 v40, v[99:100], v[107:108] offset0:2 offset1:3
	ds_write2_b64 v40, v[135:136], v[139:140] offset0:4 offset1:5
	;; [unrolled: 1-line block ×5, first 2 shown]
	ds_write_b64 v40, v[38:39] offset:96
.LBB0_17:
	s_or_b64 exec, exec, s[2:3]
	v_add_u32_e32 v40, 0x800, v72
	s_waitcnt lgkmcnt(0)
	s_barrier
	ds_read2_b64 v[36:39], v72 offset1:39
	ds_read2_b64 v[0:3], v72 offset0:78 offset1:130
	ds_read2_b64 v[44:47], v40 offset0:4 offset1:43
	;; [unrolled: 1-line block ×3, first 2 shown]
	ds_read_b64 v[48:49], v72 offset:2704
	s_and_saveexec_b64 s[2:3], s[0:1]
	s_cbranch_execz .LBB0_19
; %bb.18:
	v_add_u32_e32 v50, 0x400, v72
	ds_read_b64 v[65:66], v72 offset:936
	ds_read2_b64 v[56:59], v50 offset0:119 offset1:249
.LBB0_19:
	s_or_b64 exec, exec, s[2:3]
	s_waitcnt lgkmcnt(3)
	v_mul_f32_e32 v50, v13, v3
	v_fmac_f32_e32 v50, v12, v2
	v_mul_f32_e32 v2, v13, v2
	v_fma_f32 v12, v12, v3, -v2
	s_waitcnt lgkmcnt(2)
	v_mul_f32_e32 v13, v15, v45
	v_mul_f32_e32 v2, v15, v44
	v_fmac_f32_e32 v13, v14, v44
	v_fma_f32 v14, v14, v45, -v2
	s_waitcnt lgkmcnt(1)
	v_mul_f32_e32 v15, v9, v41
	v_mul_f32_e32 v2, v9, v40
	v_fmac_f32_e32 v15, v8, v40
	v_fma_f32 v40, v8, v41, -v2
	v_mul_f32_e32 v2, v11, v46
	v_fma_f32 v44, v10, v47, -v2
	v_mul_f32_e32 v45, v17, v43
	v_mul_f32_e32 v2, v17, v42
	v_add_f32_e32 v3, v50, v13
	v_mul_f32_e32 v41, v11, v47
	v_fmac_f32_e32 v45, v16, v42
	v_fma_f32 v42, v16, v43, -v2
	s_waitcnt lgkmcnt(0)
	v_mul_f32_e32 v2, v19, v48
	v_fma_f32 v8, -0.5, v3, v36
	v_add_f32_e32 v9, v12, v14
	v_fmac_f32_e32 v41, v10, v46
	v_mul_f32_e32 v43, v19, v49
	v_fma_f32 v19, v18, v49, -v2
	v_add_f32_e32 v2, v36, v50
	v_sub_f32_e32 v3, v12, v14
	v_mov_b32_e32 v10, v8
	v_fma_f32 v9, -0.5, v9, v37
	v_add_f32_e32 v2, v2, v13
	v_fmac_f32_e32 v10, 0xbf5db3d7, v3
	v_fmac_f32_e32 v8, 0x3f5db3d7, v3
	v_add_f32_e32 v3, v37, v12
	v_sub_f32_e32 v12, v50, v13
	v_mov_b32_e32 v11, v9
	v_add_f32_e32 v13, v15, v41
	v_fmac_f32_e32 v11, 0x3f5db3d7, v12
	v_fmac_f32_e32 v9, 0xbf5db3d7, v12
	v_add_f32_e32 v12, v38, v15
	v_fma_f32 v38, -0.5, v13, v38
	v_add_f32_e32 v3, v3, v14
	v_sub_f32_e32 v13, v40, v44
	v_mov_b32_e32 v14, v38
	v_add_f32_e32 v16, v40, v44
	v_fmac_f32_e32 v43, v18, v48
	v_fmac_f32_e32 v14, 0xbf5db3d7, v13
	;; [unrolled: 1-line block ×3, first 2 shown]
	v_add_f32_e32 v13, v39, v40
	v_fmac_f32_e32 v39, -0.5, v16
	v_sub_f32_e32 v16, v15, v41
	v_mov_b32_e32 v15, v39
	v_add_f32_e32 v17, v45, v43
	v_fmac_f32_e32 v15, 0x3f5db3d7, v16
	v_fmac_f32_e32 v39, 0xbf5db3d7, v16
	v_add_f32_e32 v16, v0, v45
	v_fma_f32 v0, -0.5, v17, v0
	v_sub_f32_e32 v17, v42, v19
	v_mov_b32_e32 v18, v0
	v_fmac_f32_e32 v18, 0xbf5db3d7, v17
	v_fmac_f32_e32 v0, 0x3f5db3d7, v17
	v_add_f32_e32 v17, v1, v42
	v_add_f32_e32 v17, v17, v19
	;; [unrolled: 1-line block ×3, first 2 shown]
	v_fmac_f32_e32 v1, -0.5, v19
	v_sub_f32_e32 v36, v45, v43
	v_mov_b32_e32 v19, v1
	v_add_f32_e32 v12, v12, v41
	v_add_f32_e32 v13, v13, v44
	;; [unrolled: 1-line block ×3, first 2 shown]
	v_fmac_f32_e32 v19, 0x3f5db3d7, v36
	v_fmac_f32_e32 v1, 0xbf5db3d7, v36
	s_barrier
	ds_write2_b64 v74, v[2:3], v[10:11] offset1:13
	ds_write_b64 v74, v[8:9] offset:208
	ds_write2_b64 v75, v[12:13], v[14:15] offset1:13
	ds_write_b64 v75, v[38:39] offset:208
	;; [unrolled: 2-line block ×3, first 2 shown]
	s_and_saveexec_b64 s[2:3], s[0:1]
	s_cbranch_execz .LBB0_21
; %bb.20:
	v_mul_f32_e32 v0, v5, v56
	v_fma_f32 v2, v4, v57, -v0
	v_mul_f32_e32 v0, v7, v58
	v_fma_f32 v8, v6, v59, -v0
	v_mul_f32_e32 v9, v5, v57
	v_add_f32_e32 v0, v2, v8
	v_fmac_f32_e32 v9, v4, v56
	v_mul_f32_e32 v4, v7, v59
	v_fma_f32 v1, -0.5, v0, v66
	v_fmac_f32_e32 v4, v6, v58
	v_sub_f32_e32 v0, v9, v4
	v_mov_b32_e32 v3, v1
	v_fmac_f32_e32 v3, 0xbf5db3d7, v0
	v_fmac_f32_e32 v1, 0x3f5db3d7, v0
	v_add_f32_e32 v0, v66, v2
	v_add_f32_e32 v5, v0, v8
	v_add_f32_e32 v0, v9, v4
	v_fma_f32 v0, -0.5, v0, v65
	v_sub_f32_e32 v6, v2, v8
	v_mov_b32_e32 v2, v0
	v_fmac_f32_e32 v2, 0x3f5db3d7, v6
	v_fmac_f32_e32 v0, 0xbf5db3d7, v6
	v_add_f32_e32 v6, v65, v9
	v_add_f32_e32 v4, v6, v4
	v_and_b32_e32 v6, 0xff, v73
	v_lshl_add_u32 v6, v6, 3, v69
	v_add_u32_e32 v7, 0x800, v6
	ds_write2_b64 v7, v[4:5], v[0:1] offset0:95 offset1:108
	ds_write_b64 v6, v[2:3] offset:3016
.LBB0_21:
	s_or_b64 exec, exec, s[2:3]
	s_waitcnt lgkmcnt(0)
	s_barrier
	ds_read2_b64 v[0:3], v72 offset1:39
	ds_read2_b64 v[4:7], v72 offset0:117 offset1:156
	ds_read2_b64 v[8:11], v72 offset0:195 offset1:234
	v_add_u32_e32 v12, 0x800, v72
	ds_read2_b64 v[12:15], v12 offset0:17 offset1:56
	ds_read_b64 v[16:17], v72 offset:624
	ds_read_b64 v[18:19], v72 offset:2808
	s_waitcnt lgkmcnt(5)
	v_mul_f32_e32 v36, v33, v3
	v_fmac_f32_e32 v36, v32, v2
	v_mul_f32_e32 v2, v33, v2
	v_fma_f32 v32, v32, v3, -v2
	s_waitcnt lgkmcnt(1)
	v_mul_f32_e32 v2, v35, v17
	v_fmac_f32_e32 v2, v34, v16
	v_mul_f32_e32 v3, v35, v16
	v_mul_f32_e32 v16, v29, v5
	v_fmac_f32_e32 v16, v28, v4
	v_mul_f32_e32 v4, v29, v4
	v_fma_f32 v4, v28, v5, -v4
	v_mul_f32_e32 v5, v31, v7
	v_fmac_f32_e32 v5, v30, v6
	v_mul_f32_e32 v6, v31, v6
	v_fma_f32 v6, v30, v7, -v6
	;; [unrolled: 4-line block ×5, first 2 shown]
	v_mul_f32_e32 v13, v23, v15
	v_fma_f32 v3, v34, v17, -v3
	v_fmac_f32_e32 v13, v22, v14
	v_mul_f32_e32 v14, v23, v14
	s_waitcnt lgkmcnt(0)
	v_mul_f32_e32 v17, v62, v18
	v_fma_f32 v14, v22, v15, -v14
	v_mul_f32_e32 v15, v62, v19
	v_fma_f32 v17, v61, v19, -v17
	v_add_f32_e32 v19, v5, v9
	v_fma_f32 v19, -0.5, v19, v0
	v_sub_f32_e32 v20, v3, v14
	v_mov_b32_e32 v21, v19
	v_fmac_f32_e32 v21, 0xbf737871, v20
	v_sub_f32_e32 v22, v6, v10
	v_sub_f32_e32 v23, v2, v5
	;; [unrolled: 1-line block ×3, first 2 shown]
	v_fmac_f32_e32 v19, 0x3f737871, v20
	v_fmac_f32_e32 v21, 0xbf167918, v22
	v_add_f32_e32 v23, v23, v24
	v_fmac_f32_e32 v19, 0x3f167918, v22
	v_fmac_f32_e32 v21, 0x3e9e377a, v23
	;; [unrolled: 1-line block ×3, first 2 shown]
	v_add_f32_e32 v23, v2, v13
	v_fma_f32 v23, -0.5, v23, v0
	v_mov_b32_e32 v24, v23
	v_fmac_f32_e32 v15, v61, v18
	v_add_f32_e32 v18, v0, v2
	v_fmac_f32_e32 v24, 0x3f737871, v22
	v_sub_f32_e32 v0, v5, v2
	v_sub_f32_e32 v25, v9, v13
	v_fmac_f32_e32 v23, 0xbf737871, v22
	v_fmac_f32_e32 v24, 0xbf167918, v20
	v_add_f32_e32 v0, v0, v25
	v_fmac_f32_e32 v23, 0x3f167918, v20
	v_fmac_f32_e32 v24, 0x3e9e377a, v0
	;; [unrolled: 1-line block ×3, first 2 shown]
	v_add_f32_e32 v0, v1, v3
	v_add_f32_e32 v0, v0, v6
	;; [unrolled: 1-line block ×7, first 2 shown]
	v_fma_f32 v22, -0.5, v0, v1
	v_add_f32_e32 v18, v18, v13
	v_sub_f32_e32 v0, v2, v13
	v_mov_b32_e32 v13, v22
	v_fmac_f32_e32 v13, 0x3f737871, v0
	v_sub_f32_e32 v2, v5, v9
	v_sub_f32_e32 v5, v3, v6
	;; [unrolled: 1-line block ×3, first 2 shown]
	v_fmac_f32_e32 v22, 0xbf737871, v0
	v_fmac_f32_e32 v13, 0x3f167918, v2
	v_add_f32_e32 v5, v5, v9
	v_fmac_f32_e32 v22, 0xbf167918, v2
	v_fmac_f32_e32 v13, 0x3e9e377a, v5
	v_fmac_f32_e32 v22, 0x3e9e377a, v5
	v_add_f32_e32 v5, v3, v14
	v_fma_f32 v25, -0.5, v5, v1
	v_mov_b32_e32 v26, v25
	v_fmac_f32_e32 v26, 0xbf737871, v2
	v_fmac_f32_e32 v25, 0x3f737871, v2
	;; [unrolled: 1-line block ×4, first 2 shown]
	v_add_f32_e32 v0, v36, v16
	v_add_f32_e32 v0, v0, v7
	;; [unrolled: 1-line block ×3, first 2 shown]
	v_sub_f32_e32 v1, v6, v3
	v_sub_f32_e32 v3, v10, v14
	v_add_f32_e32 v10, v0, v15
	v_add_f32_e32 v0, v7, v11
	v_fma_f32 v9, -0.5, v0, v36
	v_add_f32_e32 v1, v1, v3
	v_sub_f32_e32 v0, v4, v17
	v_mov_b32_e32 v3, v9
	v_fmac_f32_e32 v26, 0x3e9e377a, v1
	v_fmac_f32_e32 v25, 0x3e9e377a, v1
	;; [unrolled: 1-line block ×3, first 2 shown]
	v_sub_f32_e32 v1, v8, v12
	v_sub_f32_e32 v2, v16, v7
	;; [unrolled: 1-line block ×3, first 2 shown]
	v_fmac_f32_e32 v9, 0x3f737871, v0
	v_fmac_f32_e32 v3, 0xbf167918, v1
	v_add_f32_e32 v2, v2, v5
	v_fmac_f32_e32 v9, 0x3f167918, v1
	v_fmac_f32_e32 v3, 0x3e9e377a, v2
	;; [unrolled: 1-line block ×3, first 2 shown]
	v_add_f32_e32 v2, v16, v15
	v_fmac_f32_e32 v36, -0.5, v2
	v_mov_b32_e32 v5, v36
	v_fmac_f32_e32 v5, 0x3f737871, v1
	v_fmac_f32_e32 v36, 0xbf737871, v1
	v_fmac_f32_e32 v5, 0xbf167918, v0
	v_fmac_f32_e32 v36, 0x3f167918, v0
	v_add_f32_e32 v0, v32, v4
	v_add_f32_e32 v0, v0, v8
	v_add_f32_e32 v0, v0, v12
	v_add_f32_e32 v27, v0, v17
	v_add_f32_e32 v0, v8, v12
	v_sub_f32_e32 v2, v7, v16
	v_sub_f32_e32 v6, v11, v15
	v_fma_f32 v14, -0.5, v0, v32
	v_add_f32_e32 v2, v2, v6
	v_sub_f32_e32 v0, v16, v15
	v_mov_b32_e32 v15, v14
	v_fmac_f32_e32 v5, 0x3e9e377a, v2
	v_fmac_f32_e32 v36, 0x3e9e377a, v2
	;; [unrolled: 1-line block ×3, first 2 shown]
	v_sub_f32_e32 v1, v7, v11
	v_sub_f32_e32 v2, v4, v8
	;; [unrolled: 1-line block ×3, first 2 shown]
	v_fmac_f32_e32 v14, 0xbf737871, v0
	v_fmac_f32_e32 v15, 0x3f167918, v1
	v_add_f32_e32 v2, v2, v6
	v_fmac_f32_e32 v14, 0xbf167918, v1
	v_fmac_f32_e32 v15, 0x3e9e377a, v2
	;; [unrolled: 1-line block ×3, first 2 shown]
	v_add_f32_e32 v2, v4, v17
	v_fmac_f32_e32 v32, -0.5, v2
	v_mov_b32_e32 v7, v32
	v_fmac_f32_e32 v7, 0xbf737871, v1
	v_sub_f32_e32 v2, v8, v4
	v_sub_f32_e32 v4, v12, v17
	v_fmac_f32_e32 v32, 0x3f737871, v1
	v_fmac_f32_e32 v7, 0x3f167918, v0
	v_add_f32_e32 v2, v2, v4
	v_fmac_f32_e32 v32, 0xbf167918, v0
	v_fmac_f32_e32 v7, 0x3e9e377a, v2
	;; [unrolled: 1-line block ×3, first 2 shown]
	v_mul_f32_e32 v11, 0xbf167918, v15
	v_mul_f32_e32 v16, 0xbf737871, v7
	;; [unrolled: 1-line block ×8, first 2 shown]
	v_add_f32_e32 v0, v18, v10
	v_fmac_f32_e32 v11, 0x3f4f1bbd, v3
	v_fmac_f32_e32 v16, 0x3e9e377a, v5
	;; [unrolled: 1-line block ×4, first 2 shown]
	v_add_f32_e32 v1, v20, v27
	v_fmac_f32_e32 v15, 0x3f167918, v3
	v_fmac_f32_e32 v29, 0x3f737871, v5
	;; [unrolled: 1-line block ×4, first 2 shown]
	v_add_f32_e32 v2, v21, v11
	v_add_f32_e32 v4, v24, v16
	;; [unrolled: 1-line block ×8, first 2 shown]
	v_sub_f32_e32 v10, v18, v10
	v_sub_f32_e32 v12, v21, v11
	;; [unrolled: 1-line block ×8, first 2 shown]
	ds_write_b64 v71, v[0:1]
	ds_write2_b64 v71, v[2:3], v[4:5] offset0:39 offset1:78
	ds_write2_b64 v71, v[6:7], v[8:9] offset0:117 offset1:156
	;; [unrolled: 1-line block ×3, first 2 shown]
	v_add_u32_e32 v0, 0x800, v71
	v_sub_f32_e32 v18, v19, v28
	v_sub_f32_e32 v19, v22, v31
	ds_write2_b64 v0, v[14:15], v[16:17] offset0:17 offset1:56
	ds_write_b64 v71, v[18:19] offset:2808
	s_waitcnt lgkmcnt(0)
	s_barrier
	s_and_b64 exec, exec, vcc
	s_cbranch_execz .LBB0_23
; %bb.22:
	global_load_dwordx2 v[9:10], v67, s[8:9]
	global_load_dwordx2 v[11:12], v67, s[8:9] offset:240
	global_load_dwordx2 v[13:14], v67, s[8:9] offset:480
	;; [unrolled: 1-line block ×4, first 2 shown]
	ds_read_b64 v[21:22], v71
	ds_read2_b64 v[1:4], v71 offset0:30 offset1:60
	ds_read2_b64 v[5:8], v71 offset0:90 offset1:120
	global_load_dwordx2 v[25:26], v67, s[8:9] offset:1200
	global_load_dwordx2 v[27:28], v67, s[8:9] offset:1440
	;; [unrolled: 1-line block ×5, first 2 shown]
	v_mad_u64_u32 v[19:20], s[0:1], s6, v60, 0
	v_mad_u64_u32 v[23:24], s[2:3], s4, v68, 0
	s_mul_i32 s3, s5, 0xf0
	s_mul_hi_u32 s6, s4, 0xf0
	s_add_i32 s3, s6, s3
	s_waitcnt lgkmcnt(2)
	v_mad_u64_u32 v[35:36], s[6:7], s7, v60, v[20:21]
	s_mul_i32 s2, s4, 0xf0
	v_mov_b32_e32 v38, s11
	v_mov_b32_e32 v20, v35
	v_lshlrev_b64 v[19:20], 3, v[19:20]
	v_mov_b32_e32 v39, s3
	v_add_co_u32_e32 v19, vcc, s10, v19
	v_addc_co_u32_e32 v20, vcc, v38, v20, vcc
	s_mov_b32 s0, 0x15015015
	s_mov_b32 s1, 0x3f650150
	v_mov_b32_e32 v40, s3
	s_waitcnt vmcnt(8) lgkmcnt(1)
	v_mul_f32_e32 v38, v2, v12
	v_mul_f32_e32 v12, v1, v12
	s_waitcnt vmcnt(6) lgkmcnt(0)
	v_mul_f32_e32 v41, v6, v16
	s_waitcnt vmcnt(4)
	v_mad_u64_u32 v[36:37], s[4:5], s5, v68, v[24:25]
	v_mov_b32_e32 v37, s3
	v_mul_f32_e32 v16, v5, v16
	v_mov_b32_e32 v24, v36
	v_lshlrev_b64 v[23:24], 3, v[23:24]
	v_fmac_f32_e32 v38, v1, v11
	v_add_co_u32_e32 v19, vcc, v19, v23
	v_addc_co_u32_e32 v20, vcc, v20, v24, vcc
	v_add_co_u32_e32 v23, vcc, s2, v19
	v_addc_co_u32_e32 v24, vcc, v20, v39, vcc
	;; [unrolled: 2-line block ×3, first 2 shown]
	v_mul_f32_e32 v37, v22, v10
	v_mul_f32_e32 v10, v21, v10
	;; [unrolled: 1-line block ×4, first 2 shown]
	v_fmac_f32_e32 v37, v21, v9
	v_fma_f32 v9, v9, v22, -v10
	v_fma_f32 v10, v11, v2, -v12
	v_fmac_f32_e32 v39, v3, v13
	v_fma_f32 v13, v13, v4, -v14
	v_cvt_f64_f32_e32 v[1:2], v37
	v_cvt_f64_f32_e32 v[3:4], v9
	v_fmac_f32_e32 v41, v5, v15
	v_fma_f32 v21, v15, v6, -v16
	v_cvt_f64_f32_e32 v[5:6], v38
	v_cvt_f64_f32_e32 v[9:10], v10
	v_cvt_f64_f32_e32 v[11:12], v39
	v_cvt_f64_f32_e32 v[13:14], v13
	v_mul_f64 v[1:2], v[1:2], s[0:1]
	v_mul_f64 v[3:4], v[3:4], s[0:1]
	;; [unrolled: 1-line block ×6, first 2 shown]
	v_mul_f32_e32 v42, v8, v18
	v_fmac_f32_e32 v42, v7, v17
	v_cvt_f64_f32_e32 v[15:16], v41
	v_cvt_f64_f32_e32 v[21:22], v21
	;; [unrolled: 1-line block ×3, first 2 shown]
	v_cvt_f32_f64_e32 v1, v[1:2]
	v_cvt_f32_f64_e32 v2, v[3:4]
	;; [unrolled: 1-line block ×6, first 2 shown]
	v_mul_f64 v[15:16], v[15:16], s[0:1]
	v_mul_f64 v[21:22], v[21:22], s[0:1]
	global_store_dwordx2 v[19:20], v[1:2], off
	global_store_dwordx2 v[23:24], v[3:4], off
	global_store_dwordx2 v[35:36], v[5:6], off
	v_mul_f64 v[5:6], v[37:38], s[0:1]
	v_mul_f32_e32 v1, v7, v18
	v_fma_f32 v1, v17, v8, -v1
	v_cvt_f64_f32_e32 v[7:8], v1
	ds_read2_b64 v[1:4], v71 offset0:150 offset1:180
	v_cvt_f32_f64_e32 v9, v[15:16]
	v_cvt_f32_f64_e32 v10, v[21:22]
	v_add_co_u32_e32 v11, vcc, s2, v35
	v_cvt_f32_f64_e32 v5, v[5:6]
	v_mul_f64 v[6:7], v[7:8], s[0:1]
	s_waitcnt lgkmcnt(0)
	v_mul_f32_e32 v8, v2, v26
	v_addc_co_u32_e32 v12, vcc, v36, v40, vcc
	v_fmac_f32_e32 v8, v1, v25
	global_store_dwordx2 v[11:12], v[9:10], off
	v_cvt_f64_f32_e32 v[8:9], v8
	global_load_dwordx2 v[13:14], v67, s[8:9] offset:2400
	v_cvt_f32_f64_e32 v6, v[6:7]
	v_mov_b32_e32 v10, s3
	v_mul_f64 v[7:8], v[8:9], s[0:1]
	v_add_co_u32_e32 v9, vcc, s2, v11
	v_addc_co_u32_e32 v10, vcc, v12, v10, vcc
	global_store_dwordx2 v[9:10], v[5:6], off
	v_mul_f32_e32 v1, v1, v26
	v_fma_f32 v1, v25, v2, -v1
	v_cvt_f32_f64_e32 v5, v[7:8]
	global_load_dwordx2 v[7:8], v67, s[8:9] offset:2640
	v_cvt_f64_f32_e32 v[1:2], v1
	v_mov_b32_e32 v17, s3
	v_add_co_u32_e32 v9, vcc, s2, v9
	v_mul_f64 v[1:2], v[1:2], s[0:1]
	v_addc_co_u32_e32 v10, vcc, v10, v17, vcc
	v_cvt_f32_f64_e32 v6, v[1:2]
	s_waitcnt vmcnt(10)
	v_mul_f32_e32 v1, v4, v28
	v_fmac_f32_e32 v1, v3, v27
	v_cvt_f64_f32_e32 v[11:12], v1
	v_mul_f32_e32 v1, v3, v28
	v_fma_f32 v1, v27, v4, -v1
	v_cvt_f64_f32_e32 v[15:16], v1
	ds_read2_b64 v[1:4], v71 offset0:210 offset1:240
	global_store_dwordx2 v[9:10], v[5:6], off
	v_mul_f64 v[5:6], v[11:12], s[0:1]
	v_mul_f64 v[11:12], v[15:16], s[0:1]
	v_add_co_u32_e32 v9, vcc, s2, v9
	s_waitcnt vmcnt(10) lgkmcnt(0)
	v_mul_f32_e32 v15, v2, v30
	v_fmac_f32_e32 v15, v1, v29
	v_mul_f32_e32 v1, v1, v30
	v_fma_f32 v1, v29, v2, -v1
	v_cvt_f64_f32_e32 v[1:2], v1
	v_cvt_f64_f32_e32 v[15:16], v15
	v_cvt_f32_f64_e32 v5, v[5:6]
	v_cvt_f32_f64_e32 v6, v[11:12]
	v_mul_f64 v[1:2], v[1:2], s[0:1]
	v_mul_f64 v[11:12], v[15:16], s[0:1]
	v_mov_b32_e32 v15, s3
	v_addc_co_u32_e32 v10, vcc, v10, v15, vcc
	global_store_dwordx2 v[9:10], v[5:6], off
	v_add_co_u32_e32 v9, vcc, s2, v9
	v_cvt_f32_f64_e32 v6, v[1:2]
	s_waitcnt vmcnt(10)
	v_mul_f32_e32 v1, v4, v32
	v_fmac_f32_e32 v1, v3, v31
	v_cvt_f32_f64_e32 v5, v[11:12]
	v_cvt_f64_f32_e32 v[11:12], v1
	v_mul_f32_e32 v1, v3, v32
	v_fma_f32 v1, v31, v4, -v1
	v_cvt_f64_f32_e32 v[15:16], v1
	ds_read2_b64 v[1:4], v0 offset0:14 offset1:44
	v_addc_co_u32_e32 v10, vcc, v10, v17, vcc
	global_store_dwordx2 v[9:10], v[5:6], off
	v_mul_f64 v[5:6], v[11:12], s[0:1]
	v_mul_f64 v[11:12], v[15:16], s[0:1]
	s_waitcnt vmcnt(10) lgkmcnt(0)
	v_mul_f32_e32 v15, v2, v34
	v_fmac_f32_e32 v15, v1, v33
	v_mul_f32_e32 v1, v1, v34
	v_fma_f32 v1, v33, v2, -v1
	v_cvt_f64_f32_e32 v[1:2], v1
	v_cvt_f64_f32_e32 v[15:16], v15
	v_cvt_f32_f64_e32 v5, v[5:6]
	v_cvt_f32_f64_e32 v6, v[11:12]
	v_mul_f64 v[1:2], v[1:2], s[0:1]
	v_mul_f64 v[11:12], v[15:16], s[0:1]
	v_mov_b32_e32 v15, s3
	v_add_co_u32_e32 v9, vcc, s2, v9
	v_addc_co_u32_e32 v10, vcc, v10, v15, vcc
	global_store_dwordx2 v[9:10], v[5:6], off
	v_cvt_f32_f64_e32 v6, v[1:2]
	s_waitcnt vmcnt(6)
	v_mul_f32_e32 v1, v4, v14
	v_fmac_f32_e32 v1, v3, v13
	v_cvt_f32_f64_e32 v5, v[11:12]
	v_cvt_f64_f32_e32 v[11:12], v1
	v_mul_f32_e32 v1, v3, v14
	v_fma_f32 v1, v13, v4, -v1
	v_cvt_f64_f32_e32 v[13:14], v1
	ds_read2_b64 v[0:3], v0 offset0:74 offset1:104
	v_add_co_u32_e32 v9, vcc, s2, v9
	v_addc_co_u32_e32 v10, vcc, v10, v15, vcc
	global_store_dwordx2 v[9:10], v[5:6], off
	s_waitcnt vmcnt(5) lgkmcnt(0)
	v_mul_f32_e32 v6, v1, v8
	v_fmac_f32_e32 v6, v0, v7
	v_mul_f32_e32 v0, v0, v8
	v_fma_f32 v0, v7, v1, -v0
	v_mul_f64 v[4:5], v[11:12], s[0:1]
	v_mul_f64 v[11:12], v[13:14], s[0:1]
	v_cvt_f64_f32_e32 v[13:14], v6
	v_cvt_f64_f32_e32 v[0:1], v0
	v_add_co_u32_e32 v8, vcc, s2, v9
	v_mul_f64 v[6:7], v[13:14], s[0:1]
	v_mul_f64 v[0:1], v[0:1], s[0:1]
	v_cvt_f32_f64_e32 v4, v[4:5]
	v_cvt_f32_f64_e32 v5, v[11:12]
	v_mov_b32_e32 v11, s3
	v_addc_co_u32_e32 v9, vcc, v10, v11, vcc
	global_store_dwordx2 v[8:9], v[4:5], off
	v_cvt_f32_f64_e32 v4, v[6:7]
	v_cvt_f32_f64_e32 v5, v[0:1]
	v_mov_b32_e32 v1, s3
	v_add_co_u32_e32 v0, vcc, s2, v8
	v_addc_co_u32_e32 v1, vcc, v9, v1, vcc
	global_store_dwordx2 v[0:1], v[4:5], off
	global_load_dwordx2 v[4:5], v67, s[8:9] offset:2880
	v_add_co_u32_e32 v0, vcc, s2, v0
	s_waitcnt vmcnt(0)
	v_mul_f32_e32 v6, v3, v5
	v_fmac_f32_e32 v6, v2, v4
	v_mul_f32_e32 v2, v2, v5
	v_fma_f32 v2, v4, v3, -v2
	v_cvt_f64_f32_e32 v[6:7], v6
	v_cvt_f64_f32_e32 v[2:3], v2
	v_mul_f64 v[4:5], v[6:7], s[0:1]
	v_mul_f64 v[2:3], v[2:3], s[0:1]
	v_cvt_f32_f64_e32 v4, v[4:5]
	v_cvt_f32_f64_e32 v5, v[2:3]
	v_mov_b32_e32 v2, s3
	v_addc_co_u32_e32 v1, vcc, v1, v2, vcc
	global_store_dwordx2 v[0:1], v[4:5], off
.LBB0_23:
	s_endpgm
	.section	.rodata,"a",@progbits
	.p2align	6, 0x0
	.amdhsa_kernel bluestein_single_back_len390_dim1_sp_op_CI_CI
		.amdhsa_group_segment_fixed_size 9360
		.amdhsa_private_segment_fixed_size 0
		.amdhsa_kernarg_size 104
		.amdhsa_user_sgpr_count 6
		.amdhsa_user_sgpr_private_segment_buffer 1
		.amdhsa_user_sgpr_dispatch_ptr 0
		.amdhsa_user_sgpr_queue_ptr 0
		.amdhsa_user_sgpr_kernarg_segment_ptr 1
		.amdhsa_user_sgpr_dispatch_id 0
		.amdhsa_user_sgpr_flat_scratch_init 0
		.amdhsa_user_sgpr_private_segment_size 0
		.amdhsa_uses_dynamic_stack 0
		.amdhsa_system_sgpr_private_segment_wavefront_offset 0
		.amdhsa_system_sgpr_workgroup_id_x 1
		.amdhsa_system_sgpr_workgroup_id_y 0
		.amdhsa_system_sgpr_workgroup_id_z 0
		.amdhsa_system_sgpr_workgroup_info 0
		.amdhsa_system_vgpr_workitem_id 0
		.amdhsa_next_free_vgpr 202
		.amdhsa_next_free_sgpr 18
		.amdhsa_reserve_vcc 1
		.amdhsa_reserve_flat_scratch 0
		.amdhsa_float_round_mode_32 0
		.amdhsa_float_round_mode_16_64 0
		.amdhsa_float_denorm_mode_32 3
		.amdhsa_float_denorm_mode_16_64 3
		.amdhsa_dx10_clamp 1
		.amdhsa_ieee_mode 1
		.amdhsa_fp16_overflow 0
		.amdhsa_exception_fp_ieee_invalid_op 0
		.amdhsa_exception_fp_denorm_src 0
		.amdhsa_exception_fp_ieee_div_zero 0
		.amdhsa_exception_fp_ieee_overflow 0
		.amdhsa_exception_fp_ieee_underflow 0
		.amdhsa_exception_fp_ieee_inexact 0
		.amdhsa_exception_int_div_zero 0
	.end_amdhsa_kernel
	.text
.Lfunc_end0:
	.size	bluestein_single_back_len390_dim1_sp_op_CI_CI, .Lfunc_end0-bluestein_single_back_len390_dim1_sp_op_CI_CI
                                        ; -- End function
	.section	.AMDGPU.csdata,"",@progbits
; Kernel info:
; codeLenInByte = 13352
; NumSgprs: 22
; NumVgprs: 202
; ScratchSize: 0
; MemoryBound: 0
; FloatMode: 240
; IeeeMode: 1
; LDSByteSize: 9360 bytes/workgroup (compile time only)
; SGPRBlocks: 2
; VGPRBlocks: 50
; NumSGPRsForWavesPerEU: 22
; NumVGPRsForWavesPerEU: 202
; Occupancy: 1
; WaveLimiterHint : 1
; COMPUTE_PGM_RSRC2:SCRATCH_EN: 0
; COMPUTE_PGM_RSRC2:USER_SGPR: 6
; COMPUTE_PGM_RSRC2:TRAP_HANDLER: 0
; COMPUTE_PGM_RSRC2:TGID_X_EN: 1
; COMPUTE_PGM_RSRC2:TGID_Y_EN: 0
; COMPUTE_PGM_RSRC2:TGID_Z_EN: 0
; COMPUTE_PGM_RSRC2:TIDIG_COMP_CNT: 0
	.type	__hip_cuid_f9eaac26cb5a6ee5,@object ; @__hip_cuid_f9eaac26cb5a6ee5
	.section	.bss,"aw",@nobits
	.globl	__hip_cuid_f9eaac26cb5a6ee5
__hip_cuid_f9eaac26cb5a6ee5:
	.byte	0                               ; 0x0
	.size	__hip_cuid_f9eaac26cb5a6ee5, 1

	.ident	"AMD clang version 19.0.0git (https://github.com/RadeonOpenCompute/llvm-project roc-6.4.0 25133 c7fe45cf4b819c5991fe208aaa96edf142730f1d)"
	.section	".note.GNU-stack","",@progbits
	.addrsig
	.addrsig_sym __hip_cuid_f9eaac26cb5a6ee5
	.amdgpu_metadata
---
amdhsa.kernels:
  - .args:
      - .actual_access:  read_only
        .address_space:  global
        .offset:         0
        .size:           8
        .value_kind:     global_buffer
      - .actual_access:  read_only
        .address_space:  global
        .offset:         8
        .size:           8
        .value_kind:     global_buffer
      - .actual_access:  read_only
        .address_space:  global
        .offset:         16
        .size:           8
        .value_kind:     global_buffer
      - .actual_access:  read_only
        .address_space:  global
        .offset:         24
        .size:           8
        .value_kind:     global_buffer
      - .actual_access:  read_only
        .address_space:  global
        .offset:         32
        .size:           8
        .value_kind:     global_buffer
      - .offset:         40
        .size:           8
        .value_kind:     by_value
      - .address_space:  global
        .offset:         48
        .size:           8
        .value_kind:     global_buffer
      - .address_space:  global
        .offset:         56
        .size:           8
        .value_kind:     global_buffer
      - .address_space:  global
        .offset:         64
        .size:           8
        .value_kind:     global_buffer
      - .address_space:  global
        .offset:         72
        .size:           8
        .value_kind:     global_buffer
      - .offset:         80
        .size:           4
        .value_kind:     by_value
      - .address_space:  global
        .offset:         88
        .size:           8
        .value_kind:     global_buffer
      - .address_space:  global
        .offset:         96
        .size:           8
        .value_kind:     global_buffer
    .group_segment_fixed_size: 9360
    .kernarg_segment_align: 8
    .kernarg_segment_size: 104
    .language:       OpenCL C
    .language_version:
      - 2
      - 0
    .max_flat_workgroup_size: 117
    .name:           bluestein_single_back_len390_dim1_sp_op_CI_CI
    .private_segment_fixed_size: 0
    .sgpr_count:     22
    .sgpr_spill_count: 0
    .symbol:         bluestein_single_back_len390_dim1_sp_op_CI_CI.kd
    .uniform_work_group_size: 1
    .uses_dynamic_stack: false
    .vgpr_count:     202
    .vgpr_spill_count: 0
    .wavefront_size: 64
amdhsa.target:   amdgcn-amd-amdhsa--gfx906
amdhsa.version:
  - 1
  - 2
...

	.end_amdgpu_metadata
